;; amdgpu-corpus repo=ROCm/rocFFT kind=compiled arch=gfx1100 opt=O3
	.text
	.amdgcn_target "amdgcn-amd-amdhsa--gfx1100"
	.amdhsa_code_object_version 6
	.protected	bluestein_single_fwd_len1694_dim1_dp_op_CI_CI ; -- Begin function bluestein_single_fwd_len1694_dim1_dp_op_CI_CI
	.globl	bluestein_single_fwd_len1694_dim1_dp_op_CI_CI
	.p2align	8
	.type	bluestein_single_fwd_len1694_dim1_dp_op_CI_CI,@function
bluestein_single_fwd_len1694_dim1_dp_op_CI_CI: ; @bluestein_single_fwd_len1694_dim1_dp_op_CI_CI
; %bb.0:
	s_load_b128 s[16:19], s[0:1], 0x28
	v_mul_u32_u24_e32 v1, 0x1aa, v0
	s_mov_b32 s2, exec_lo
	v_mov_b32_e32 v3, 0
	s_delay_alu instid0(VALU_DEP_2) | instskip(NEXT) | instid1(VALU_DEP_1)
	v_lshrrev_b32_e32 v1, 16, v1
	v_add_nc_u32_e32 v2, s15, v1
	s_waitcnt lgkmcnt(0)
	s_delay_alu instid0(VALU_DEP_1)
	v_cmpx_gt_u64_e64 s[16:17], v[2:3]
	s_cbranch_execz .LBB0_18
; %bb.1:
	s_clause 0x1
	s_load_b128 s[4:7], s[0:1], 0x18
	s_load_b128 s[8:11], s[0:1], 0x0
	v_mul_lo_u16 v1, 0x9a, v1
	s_mov_b32 s22, 0xf8bb580b
	s_mov_b32 s23, 0xbfe14ced
	;; [unrolled: 1-line block ×4, first 2 shown]
	v_sub_nc_u16 v60, v0, v1
	v_mov_b32_e32 v0, v2
	s_mov_b32 s24, 0xbb3a28a1
	s_mov_b32 s25, 0xbfe82f19
	;; [unrolled: 1-line block ×3, first 2 shown]
	v_and_b32_e32 v213, 0xffff, v60
	s_mov_b32 s27, 0xbfd207e7
	s_mov_b32 s29, 0x3fe14ced
	;; [unrolled: 1-line block ×7, first 2 shown]
	s_waitcnt lgkmcnt(0)
	s_load_b128 s[12:15], s[4:5], 0x0
	s_mov_b32 s34, s20
	s_mov_b32 s17, 0xbfeeb42a
	s_waitcnt lgkmcnt(0)
	v_mad_u64_u32 v[16:17], null, s12, v213, 0
	v_mad_u64_u32 v[8:9], null, s14, v2, 0
	s_mul_hi_u32 s3, s12, 0x9a0
	s_mul_i32 s4, s12, 0x9a0
	s_delay_alu instid0(VALU_DEP_2) | instskip(SKIP_1) | instid1(VALU_DEP_1)
	v_mov_b32_e32 v12, v17
	v_lshlrev_b32_e32 v214, 4, v213
	v_add_co_u32 v198, s2, s8, v214
	s_delay_alu instid0(VALU_DEP_1) | instskip(SKIP_1) | instid1(VALU_DEP_2)
	v_add_co_ci_u32_e64 v199, null, s9, 0, s2
	s_mul_i32 s2, s13, 0x9a0
	v_add_co_u32 v10, vcc_lo, 0x1000, v198
	s_delay_alu instid0(VALU_DEP_2) | instskip(SKIP_1) | instid1(VALU_DEP_3)
	v_add_co_ci_u32_e32 v11, vcc_lo, 0, v199, vcc_lo
	v_add_co_u32 v18, vcc_lo, 0x2000, v198
	v_mad_u64_u32 v[13:14], null, s15, v2, v[9:10]
	v_add_co_ci_u32_e32 v19, vcc_lo, 0, v199, vcc_lo
	v_add_co_u32 v20, vcc_lo, 0x3000, v198
	v_add_co_ci_u32_e32 v21, vcc_lo, 0, v199, vcc_lo
	s_delay_alu instid0(VALU_DEP_4) | instskip(SKIP_4) | instid1(VALU_DEP_4)
	v_mov_b32_e32 v9, v13
	v_mad_u64_u32 v[14:15], null, s13, v213, v[12:13]
	v_add_co_u32 v24, vcc_lo, 0x4000, v198
	v_add_co_ci_u32_e32 v25, vcc_lo, 0, v199, vcc_lo
	v_add_co_u32 v36, vcc_lo, 0x5000, v198
	v_mov_b32_e32 v17, v14
	v_lshlrev_b64 v[22:23], 4, v[8:9]
	v_add_co_ci_u32_e32 v37, vcc_lo, 0, v199, vcc_lo
	v_add_co_u32 v180, vcc_lo, 0x6000, v198
	v_add_co_ci_u32_e32 v181, vcc_lo, 0, v199, vcc_lo
	v_lshlrev_b64 v[16:17], 4, v[16:17]
	s_clause 0x1
	global_load_b128 v[3:6], v214, s[8:9]
	global_load_b128 v[26:29], v214, s[8:9] offset:2464
	scratch_store_b64 off, v[0:1], off offset:32 ; 8-byte Folded Spill
	v_add_co_u32 v0, vcc_lo, s18, v22
	v_add_co_ci_u32_e32 v1, vcc_lo, s19, v23, vcc_lo
	s_add_i32 s3, s3, s2
	s_delay_alu instid0(VALU_DEP_2) | instskip(NEXT) | instid1(VALU_DEP_2)
	v_add_co_u32 v38, vcc_lo, v0, v16
	v_add_co_ci_u32_e32 v39, vcc_lo, v1, v17, vcc_lo
	s_clause 0x1
	global_load_b128 v[12:15], v[10:11], off offset:832
	global_load_b128 v[7:10], v[10:11], off offset:3296
	v_add_co_u32 v40, vcc_lo, v38, s4
	v_add_co_ci_u32_e32 v41, vcc_lo, s3, v39, vcc_lo
	global_load_b128 v[16:19], v[18:19], off offset:1664
	v_add_co_u32 v42, vcc_lo, v40, s4
	v_add_co_ci_u32_e32 v43, vcc_lo, s3, v41, vcc_lo
	s_clause 0x1
	global_load_b128 v[133:136], v[20:21], off offset:32
	global_load_b128 v[20:23], v[20:21], off offset:2496
	v_add_co_u32 v56, vcc_lo, v42, s4
	v_add_co_ci_u32_e32 v57, vcc_lo, s3, v43, vcc_lo
	s_clause 0x1
	global_load_b128 v[137:140], v[24:25], off offset:864
	global_load_b128 v[30:33], v[24:25], off offset:3328
	v_add_co_u32 v61, vcc_lo, v56, s4
	v_add_co_ci_u32_e32 v62, vcc_lo, s3, v57, vcc_lo
	s_clause 0x1
	global_load_b128 v[44:47], v[38:39], off
	global_load_b128 v[48:51], v[40:41], off
	v_add_co_u32 v38, vcc_lo, v61, s4
	v_add_co_ci_u32_e32 v39, vcc_lo, s3, v62, vcc_lo
	global_load_b128 v[52:55], v[42:43], off
	v_add_co_u32 v40, vcc_lo, v38, s4
	v_add_co_ci_u32_e32 v41, vcc_lo, s3, v39, vcc_lo
	s_clause 0x1
	global_load_b128 v[56:59], v[56:57], off
	global_load_b128 v[61:64], v[61:62], off
	v_add_co_u32 v42, vcc_lo, v40, s4
	v_add_co_ci_u32_e32 v43, vcc_lo, s3, v41, vcc_lo
	global_load_b128 v[65:68], v[38:39], off
	v_add_co_u32 v38, vcc_lo, v42, s4
	v_add_co_ci_u32_e32 v39, vcc_lo, s3, v43, vcc_lo
	;; [unrolled: 3-line block ×4, first 2 shown]
	global_load_b128 v[77:80], v[38:39], off
	global_load_b128 v[34:37], v[36:37], off offset:1696
	global_load_b128 v[81:84], v[40:41], off
	global_load_b128 v[38:41], v[180:181], off offset:64
	global_load_b128 v[85:88], v[85:86], off
	s_load_b128 s[4:7], s[6:7], 0x0
	s_mov_b32 s19, 0xbfed1bb4
	s_mov_b32 s18, 0x8eee2c13
	;; [unrolled: 1-line block ×10, first 2 shown]
	v_mul_lo_u16 v0, v60, 11
	v_cmp_gt_u16_e32 vcc_lo, 0x4d, v60
	s_delay_alu instid0(VALU_DEP_2)
	v_and_b32_e32 v0, 0xffff, v0
	s_waitcnt vmcnt(21)
	scratch_store_b128 off, v[3:6], off offset:40 ; 16-byte Folded Spill
	s_waitcnt vmcnt(20)
	scratch_store_b128 off, v[26:29], off offset:56 ; 16-byte Folded Spill
	;; [unrolled: 2-line block ×9, first 2 shown]
	s_waitcnt vmcnt(12)
	v_mul_f64 v[89:90], v[46:47], v[5:6]
	v_mul_f64 v[91:92], v[44:45], v[5:6]
	s_waitcnt vmcnt(11)
	v_mul_f64 v[93:94], v[50:51], v[28:29]
	v_mul_f64 v[95:96], v[48:49], v[28:29]
	;; [unrolled: 3-line block ×8, first 2 shown]
	s_waitcnt vmcnt(3)
	scratch_store_b128 off, v[34:37], off offset:184 ; 16-byte Folded Spill
	v_mul_f64 v[121:122], v[79:80], v[32:33]
	v_mul_f64 v[123:124], v[77:78], v[32:33]
	s_waitcnt vmcnt(2)
	v_mul_f64 v[125:126], v[83:84], v[36:37]
	v_mul_f64 v[127:128], v[81:82], v[36:37]
	s_waitcnt vmcnt(0)
	v_mul_f64 v[129:130], v[87:88], v[40:41]
	v_mul_f64 v[131:132], v[85:86], v[40:41]
	scratch_store_b128 off, v[38:41], off offset:200 ; 16-byte Folded Spill
	v_fma_f64 v[44:45], v[44:45], v[3:4], v[89:90]
	v_fma_f64 v[46:47], v[46:47], v[3:4], -v[91:92]
	v_fma_f64 v[48:49], v[48:49], v[26:27], v[93:94]
	v_fma_f64 v[50:51], v[50:51], v[26:27], -v[95:96]
	;; [unrolled: 2-line block ×11, first 2 shown]
	ds_store_b128 v214, v[44:47]
	ds_store_b128 v214, v[48:51] offset:2464
	ds_store_b128 v214, v[52:55] offset:4928
	;; [unrolled: 1-line block ×10, first 2 shown]
	s_waitcnt lgkmcnt(0)
	s_waitcnt_vscnt null, 0x0
	s_barrier
	buffer_gl0_inv
	ds_load_b128 v[48:51], v214
	ds_load_b128 v[61:64], v214 offset:2464
	ds_load_b128 v[44:47], v214 offset:24640
	;; [unrolled: 1-line block ×10, first 2 shown]
	s_waitcnt lgkmcnt(0)
	s_barrier
	buffer_gl0_inv
	v_add_f64 v[89:90], v[48:49], v[61:62]
	v_add_f64 v[91:92], v[50:51], v[63:64]
	v_add_f64 v[93:94], v[63:64], -v[46:47]
	v_add_f64 v[95:96], v[61:62], -v[44:45]
	;; [unrolled: 1-line block ×4, first 2 shown]
	v_add_f64 v[105:106], v[69:70], v[56:57]
	v_add_f64 v[107:108], v[71:72], v[58:59]
	v_add_f64 v[97:98], v[65:66], -v[52:53]
	v_add_f64 v[99:100], v[67:68], -v[54:55]
	v_add_f64 v[61:62], v[61:62], v[44:45]
	v_add_f64 v[63:64], v[63:64], v[46:47]
	v_add_f64 v[121:122], v[85:86], -v[73:74]
	v_add_f64 v[109:110], v[81:82], v[77:78]
	v_add_f64 v[111:112], v[83:84], -v[79:80]
	v_add_f64 v[113:114], v[81:82], -v[77:78]
	v_add_f64 v[115:116], v[83:84], v[79:80]
	v_add_f64 v[123:124], v[87:88], -v[75:76]
	v_add_f64 v[117:118], v[85:86], v[73:74]
	v_add_f64 v[119:120], v[87:88], v[75:76]
	;; [unrolled: 1-line block ×4, first 2 shown]
	v_mul_f64 v[125:126], v[93:94], s[22:23]
	v_mul_f64 v[127:128], v[95:96], s[22:23]
	;; [unrolled: 1-line block ×12, first 2 shown]
	s_mov_b32 s19, 0x3fed1bb4
	v_add_f64 v[65:66], v[65:66], v[52:53]
	v_add_f64 v[67:68], v[67:68], v[54:55]
	v_mul_f64 v[145:146], v[99:100], s[24:25]
	v_mul_f64 v[147:148], v[97:98], s[24:25]
	;; [unrolled: 1-line block ×21, first 2 shown]
	v_add_f64 v[69:70], v[89:90], v[69:70]
	v_add_f64 v[71:72], v[91:92], v[71:72]
	v_mul_f64 v[89:90], v[99:100], s[30:31]
	v_mul_f64 v[91:92], v[97:98], s[30:31]
	v_fma_f64 v[206:207], v[61:62], s[8:9], -v[129:130]
	v_fma_f64 v[208:209], v[63:64], s[8:9], v[131:132]
	v_fma_f64 v[210:211], v[61:62], s[12:13], -v[133:134]
	v_fma_f64 v[215:216], v[63:64], s[12:13], v[135:136]
	v_fma_f64 v[129:130], v[61:62], s[8:9], v[129:130]
	;; [unrolled: 1-line block ×3, first 2 shown]
	v_fma_f64 v[217:218], v[61:62], s[14:15], -v[137:138]
	v_fma_f64 v[219:220], v[63:64], s[14:15], v[139:140]
	v_mul_f64 v[99:100], v[99:100], s[28:29]
	v_mul_f64 v[97:98], v[97:98], s[28:29]
	v_fma_f64 v[137:138], v[61:62], s[14:15], v[137:138]
	v_fma_f64 v[221:222], v[61:62], s[16:17], -v[93:94]
	v_fma_f64 v[223:224], v[63:64], s[16:17], v[95:96]
	v_fma_f64 v[131:132], v[63:64], s[8:9], -v[131:132]
	v_fma_f64 v[135:136], v[63:64], s[12:13], -v[135:136]
	;; [unrolled: 1-line block ×4, first 2 shown]
	v_fma_f64 v[227:228], v[67:68], s[14:15], v[147:148]
	v_fma_f64 v[145:146], v[65:66], s[14:15], v[145:146]
	v_fma_f64 v[233:234], v[65:66], s[12:13], -v[149:150]
	v_fma_f64 v[235:236], v[67:68], s[12:13], v[151:152]
	v_fma_f64 v[149:150], v[65:66], s[12:13], v[149:150]
	v_fma_f64 v[147:148], v[67:68], s[14:15], -v[147:148]
	v_mul_f64 v[175:176], v[113:114], s[34:35]
	v_mul_f64 v[177:178], v[111:112], s[22:23]
	;; [unrolled: 1-line block ×8, first 2 shown]
	v_fma_f64 v[237:238], v[105:106], s[16:17], -v[157:158]
	v_fma_f64 v[239:240], v[107:108], s[16:17], v[159:160]
	v_fma_f64 v[157:158], v[105:106], s[16:17], v[157:158]
	v_add_f64 v[69:70], v[69:70], v[81:82]
	v_add_f64 v[71:72], v[71:72], v[83:84]
	v_mul_f64 v[81:82], v[121:122], s[18:19]
	v_fma_f64 v[83:84], v[61:62], s[2:3], -v[125:126]
	v_fma_f64 v[121:122], v[63:64], s[2:3], v[127:128]
	v_fma_f64 v[125:126], v[61:62], s[2:3], v[125:126]
	v_fma_f64 v[127:128], v[63:64], s[2:3], -v[127:128]
	v_fma_f64 v[61:62], v[61:62], s[16:17], v[93:94]
	v_fma_f64 v[63:64], v[63:64], s[16:17], -v[95:96]
	v_fma_f64 v[93:94], v[65:66], s[8:9], -v[141:142]
	v_fma_f64 v[95:96], v[67:68], s[8:9], v[143:144]
	v_fma_f64 v[141:142], v[65:66], s[8:9], v[141:142]
	v_fma_f64 v[143:144], v[67:68], s[8:9], -v[143:144]
	v_add_f64 v[206:207], v[48:49], v[206:207]
	v_add_f64 v[208:209], v[50:51], v[208:209]
	v_fma_f64 v[229:230], v[65:66], s[16:17], -v[89:90]
	v_fma_f64 v[231:232], v[67:68], s[16:17], v[91:92]
	v_add_f64 v[210:211], v[48:49], v[210:211]
	v_add_f64 v[215:216], v[50:51], v[215:216]
	v_fma_f64 v[89:90], v[65:66], s[16:17], v[89:90]
	v_add_f64 v[129:130], v[48:49], v[129:130]
	v_add_f64 v[133:134], v[48:49], v[133:134]
	;; [unrolled: 1-line block ×7, first 2 shown]
	v_fma_f64 v[91:92], v[67:68], s[16:17], -v[91:92]
	v_add_f64 v[135:136], v[50:51], v[135:136]
	v_add_f64 v[131:132], v[50:51], v[131:132]
	v_fma_f64 v[159:160], v[107:108], s[16:17], -v[159:160]
	v_fma_f64 v[241:242], v[105:106], s[2:3], -v[161:162]
	v_fma_f64 v[243:244], v[107:108], s[2:3], v[163:164]
	v_fma_f64 v[161:162], v[105:106], s[2:3], v[161:162]
	v_fma_f64 v[163:164], v[107:108], s[2:3], -v[163:164]
	v_fma_f64 v[249:250], v[105:106], s[8:9], -v[101:102]
	v_fma_f64 v[101:102], v[105:106], s[8:9], v[101:102]
	v_mul_f64 v[192:193], v[123:124], s[28:29]
	v_add_f64 v[69:70], v[69:70], v[85:86]
	v_add_f64 v[71:72], v[71:72], v[87:88]
	v_fma_f64 v[85:86], v[67:68], s[12:13], -v[151:152]
	v_add_f64 v[83:84], v[48:49], v[83:84]
	v_fma_f64 v[87:88], v[65:66], s[2:3], -v[99:100]
	v_add_f64 v[125:126], v[48:49], v[125:126]
	v_add_f64 v[127:128], v[50:51], v[127:128]
	v_fma_f64 v[151:152], v[67:68], s[2:3], v[97:98]
	v_fma_f64 v[65:66], v[65:66], s[2:3], v[99:100]
	v_fma_f64 v[67:68], v[67:68], s[2:3], -v[97:98]
	v_add_f64 v[48:49], v[48:49], v[61:62]
	v_add_f64 v[61:62], v[50:51], v[63:64]
	;; [unrolled: 1-line block ×4, first 2 shown]
	v_fma_f64 v[97:98], v[105:106], s[12:13], -v[153:154]
	v_fma_f64 v[99:100], v[107:108], s[12:13], v[155:156]
	v_fma_f64 v[153:154], v[105:106], s[12:13], v[153:154]
	v_fma_f64 v[155:156], v[107:108], s[12:13], -v[155:156]
	v_fma_f64 v[121:122], v[105:106], s[14:15], v[165:166]
	v_fma_f64 v[139:140], v[107:108], s[14:15], -v[167:168]
	v_add_f64 v[129:130], v[145:146], v[129:130]
	v_add_f64 v[89:90], v[89:90], v[133:134]
	;; [unrolled: 1-line block ×5, first 2 shown]
	v_fma_f64 v[245:246], v[109:110], s[12:13], -v[173:174]
	v_fma_f64 v[247:248], v[115:116], s[12:13], v[175:176]
	v_fma_f64 v[173:174], v[109:110], s[12:13], v[173:174]
	v_mul_f64 v[196:197], v[123:124], s[24:25]
	v_mul_f64 v[202:203], v[123:124], s[20:21]
	;; [unrolled: 1-line block ×3, first 2 shown]
	v_fma_f64 v[175:176], v[115:116], s[12:13], -v[175:176]
	v_add_f64 v[69:70], v[69:70], v[73:74]
	v_add_f64 v[71:72], v[71:72], v[75:76]
	v_fma_f64 v[73:74], v[105:106], s[14:15], -v[165:166]
	v_fma_f64 v[75:76], v[107:108], s[14:15], v[167:168]
	v_fma_f64 v[105:106], v[107:108], s[8:9], v[103:104]
	v_fma_f64 v[103:104], v[107:108], s[8:9], -v[103:104]
	v_add_f64 v[83:84], v[93:94], v[83:84]
	v_add_f64 v[93:94], v[141:142], v[125:126]
	;; [unrolled: 1-line block ×15, first 2 shown]
	v_fma_f64 v[165:166], v[109:110], s[14:15], -v[169:170]
	v_fma_f64 v[167:168], v[115:116], s[14:15], v[171:172]
	v_fma_f64 v[169:170], v[109:110], s[14:15], v[169:170]
	v_fma_f64 v[171:172], v[115:116], s[14:15], -v[171:172]
	v_fma_f64 v[85:86], v[109:110], s[2:3], v[177:178]
	v_fma_f64 v[91:92], v[115:116], s[2:3], -v[182:183]
	v_fma_f64 v[95:96], v[109:110], s[16:17], -v[184:185]
	v_fma_f64 v[131:132], v[115:116], s[16:17], v[186:187]
	v_fma_f64 v[135:136], v[109:110], s[16:17], v[184:185]
	v_fma_f64 v[147:148], v[115:116], s[16:17], -v[186:187]
	v_fma_f64 v[151:152], v[117:118], s[16:17], -v[188:189]
	;; [unrolled: 1-line block ×3, first 2 shown]
	v_add_f64 v[89:90], v[101:102], v[89:90]
	v_add_f64 v[101:102], v[241:242], v[133:134]
	v_fma_f64 v[184:185], v[119:120], s[16:17], -v[190:191]
	v_fma_f64 v[133:134], v[117:118], s[14:15], v[196:197]
	v_add_f64 v[69:70], v[69:70], v[77:78]
	v_add_f64 v[71:72], v[71:72], v[79:80]
	v_fma_f64 v[77:78], v[109:110], s[2:3], -v[177:178]
	v_fma_f64 v[79:80], v[115:116], s[2:3], v[182:183]
	v_fma_f64 v[182:183], v[117:118], s[16:17], v[188:189]
	v_fma_f64 v[188:189], v[115:116], s[8:9], v[113:114]
	v_fma_f64 v[109:110], v[109:110], s[8:9], v[111:112]
	v_fma_f64 v[111:112], v[115:116], s[8:9], -v[113:114]
	v_add_f64 v[83:84], v[97:98], v[83:84]
	v_add_f64 v[93:94], v[153:154], v[93:94]
	;; [unrolled: 1-line block ×18, first 2 shown]
	v_fma_f64 v[177:178], v[119:120], s[16:17], v[190:191]
	v_fma_f64 v[99:100], v[119:120], s[2:3], -v[194:195]
	v_fma_f64 v[121:122], v[119:120], s[14:15], v[200:201]
	v_fma_f64 v[137:138], v[119:120], s[14:15], -v[200:201]
	;; [unrolled: 2-line block ×4, first 2 shown]
	v_fma_f64 v[149:150], v[117:118], s[8:9], -v[123:124]
	v_add_f64 v[85:86], v[85:86], v[89:90]
	v_add_f64 v[89:90], v[95:96], v[101:102]
	v_fma_f64 v[139:140], v[117:118], s[12:13], -v[202:203]
	v_add_f64 v[56:57], v[69:70], v[56:57]
	v_add_f64 v[58:59], v[71:72], v[58:59]
	v_fma_f64 v[69:70], v[117:118], s[2:3], -v[192:193]
	v_fma_f64 v[71:72], v[119:120], s[2:3], v[194:195]
	v_fma_f64 v[119:120], v[119:120], s[8:9], -v[81:82]
	v_fma_f64 v[87:88], v[117:118], s[2:3], v[192:193]
	v_fma_f64 v[143:144], v[117:118], s[12:13], v[202:203]
	;; [unrolled: 1-line block ×3, first 2 shown]
	v_add_f64 v[81:82], v[165:166], v[83:84]
	v_add_f64 v[83:84], v[169:170], v[93:94]
	;; [unrolled: 1-line block ×18, first 2 shown]
	v_lshlrev_b32_e32 v200, 4, v0
	s_load_b64 s[2:3], s[0:1], 0x38
	v_add_f64 v[73:74], v[149:150], v[89:90]
	v_add_f64 v[125:126], v[56:57], v[52:53]
	v_add_f64 v[54:55], v[58:59], v[54:55]
	v_add_f64 v[52:53], v[151:152], v[81:82]
	v_add_f64 v[48:49], v[182:183], v[83:84]
	v_add_f64 v[50:51], v[184:185], v[93:94]
	v_add_f64 v[56:57], v[69:70], v[97:98]
	v_add_f64 v[58:59], v[71:72], v[107:108]
	v_add_f64 v[65:66], v[103:104], v[77:78]
	v_add_f64 v[67:68], v[121:122], v[79:80]
	v_add_f64 v[75:76], v[153:154], v[95:96]
	v_add_f64 v[61:62], v[87:88], v[113:114]
	v_add_f64 v[81:82], v[139:140], v[105:106]
	v_add_f64 v[83:84], v[141:142], v[115:116]
	v_add_f64 v[69:70], v[133:134], v[85:86]
	v_add_f64 v[85:86], v[143:144], v[109:110]
	v_add_f64 v[87:88], v[145:146], v[111:112]
	v_add_f64 v[77:78], v[117:118], v[101:102]
	v_add_f64 v[79:80], v[119:120], v[63:64]
	v_add_f64 v[71:72], v[137:138], v[91:92]
	v_add_f64 v[63:64], v[99:100], v[123:124]
                                        ; implicit-def: $vgpr92_vgpr93
	v_add_f64 v[44:45], v[125:126], v[44:45]
	v_add_f64 v[46:47], v[54:55], v[46:47]
	v_add_f64 v[54:55], v[177:178], v[127:128]
	ds_store_b128 v200, v[56:59] offset:32
	ds_store_b128 v200, v[65:68] offset:48
	;; [unrolled: 1-line block ×9, first 2 shown]
	ds_store_b128 v200, v[44:47]
	ds_store_b128 v200, v[52:55] offset:16
	s_waitcnt lgkmcnt(0)
	s_barrier
	buffer_gl0_inv
	ds_load_b128 v[52:55], v214
	ds_load_b128 v[56:59], v214 offset:2464
	ds_load_b128 v[96:99], v214 offset:16016
	;; [unrolled: 1-line block ×9, first 2 shown]
	s_and_saveexec_b32 s0, vcc_lo
	s_cbranch_execz .LBB0_3
; %bb.2:
	ds_load_b128 v[48:51], v214 offset:12320
	ds_load_b128 v[92:95], v214 offset:25872
.LBB0_3:
	s_or_b32 exec_lo, exec_lo, s0
	v_and_b32_e32 v0, 0xff, v213
	v_add_co_u32 v182, null, 0x9a, v213
	v_add_co_u32 v2, null, 0x134, v213
	s_delay_alu instid0(VALU_DEP_3) | instskip(SKIP_1) | instid1(VALU_DEP_4)
	v_mul_lo_u16 v0, 0x75, v0
	v_add_co_u32 v3, null, 0x1ce, v213
	v_and_b32_e32 v4, 0xffff, v182
	v_add_co_u32 v5, null, 0x268, v213
	s_delay_alu instid0(VALU_DEP_4) | instskip(SKIP_1) | instid1(VALU_DEP_4)
	v_lshrrev_b16 v0, 8, v0
	v_and_b32_e32 v6, 0xffff, v2
	v_mul_u32_u24_e32 v4, 0xba2f, v4
	s_delay_alu instid0(VALU_DEP_4) | instskip(NEXT) | instid1(VALU_DEP_4)
	v_and_b32_e32 v7, 0xffff, v5
	v_sub_nc_u16 v1, v213, v0
	s_delay_alu instid0(VALU_DEP_4) | instskip(NEXT) | instid1(VALU_DEP_4)
	v_mul_u32_u24_e32 v6, 0xba2f, v6
	v_lshrrev_b32_e32 v4, 19, v4
	s_delay_alu instid0(VALU_DEP_4) | instskip(NEXT) | instid1(VALU_DEP_4)
	v_mul_u32_u24_e32 v7, 0xba2f, v7
	v_lshrrev_b16 v1, 1, v1
	s_delay_alu instid0(VALU_DEP_4) | instskip(NEXT) | instid1(VALU_DEP_4)
	v_lshrrev_b32_e32 v6, 19, v6
	v_mul_lo_u16 v9, v4, 11
	s_delay_alu instid0(VALU_DEP_4) | instskip(NEXT) | instid1(VALU_DEP_4)
	v_lshrrev_b32_e32 v7, 19, v7
	v_and_b32_e32 v1, 0x7f, v1
	s_delay_alu instid0(VALU_DEP_4) | instskip(NEXT) | instid1(VALU_DEP_4)
	v_mul_lo_u16 v10, v6, 11
	v_sub_nc_u16 v9, v182, v9
	s_delay_alu instid0(VALU_DEP_4) | instskip(NEXT) | instid1(VALU_DEP_4)
	v_mul_lo_u16 v12, v7, 11
	v_add_nc_u16 v0, v1, v0
	v_and_b32_e32 v1, 0xffff, v3
	v_sub_nc_u16 v2, v2, v10
	v_and_b32_e32 v10, 0xffff, v9
	v_sub_nc_u16 v5, v5, v12
	v_lshrrev_b16 v0, 3, v0
	v_mul_u32_u24_e32 v1, 0xba2f, v1
	v_mad_u16 v4, v4, 22, v9
	v_lshlrev_b32_e32 v10, 4, v10
	v_and_b32_e32 v14, 0xffff, v5
	v_mul_lo_u16 v8, v0, 11
	v_lshrrev_b32_e32 v1, 19, v1
	v_and_b32_e32 v0, 0xffff, v0
	v_and_b32_e32 v4, 0xffff, v4
	global_load_b128 v[72:75], v10, s[10:11]
	v_sub_nc_u16 v8, v213, v8
	v_mul_lo_u16 v11, v1, 11
	v_lshlrev_b32_e32 v10, 4, v14
	v_mul_u32_u24_e32 v0, 22, v0
	v_lshlrev_b32_e32 v4, 4, v4
	v_and_b32_e32 v8, 0xff, v8
	v_sub_nc_u16 v3, v3, v11
	v_and_b32_e32 v11, 0xffff, v2
	v_mad_u16 v2, v6, 22, v2
	s_delay_alu instid0(VALU_DEP_4) | instskip(NEXT) | instid1(VALU_DEP_4)
	v_lshlrev_b32_e32 v12, 4, v8
	v_and_b32_e32 v13, 0xffff, v3
	s_delay_alu instid0(VALU_DEP_4)
	v_lshlrev_b32_e32 v11, 4, v11
	v_mad_u16 v1, v1, 22, v3
	v_mad_u16 v3, v7, 22, v5
	global_load_b128 v[68:71], v12, s[10:11]
	v_lshlrev_b32_e32 v12, 4, v13
	v_and_b32_e32 v2, 0xffff, v2
	s_clause 0x1
	global_load_b128 v[76:79], v11, s[10:11]
	global_load_b128 v[64:67], v12, s[10:11]
	v_add_nc_u16 v11, v213, 0x302
	global_load_b128 v[80:83], v10, s[10:11]
	v_and_b32_e32 v1, 0xffff, v1
	v_and_b32_e32 v3, 0xffff, v3
	v_lshlrev_b32_e32 v2, 4, v2
	v_and_b32_e32 v10, 0xffff, v11
	v_add_lshl_u32 v5, v0, v8, 4
	v_lshlrev_b32_e32 v1, 4, v1
	v_lshlrev_b32_e32 v0, 4, v3
	s_delay_alu instid0(VALU_DEP_4) | instskip(NEXT) | instid1(VALU_DEP_1)
	v_mul_u32_u24_e32 v10, 0xba2f, v10
	v_lshrrev_b32_e32 v10, 19, v10
	scratch_store_b32 off, v10, off offset:216 ; 4-byte Folded Spill
	v_mul_lo_u16 v10, v10, 11
	s_delay_alu instid0(VALU_DEP_1) | instskip(SKIP_2) | instid1(VALU_DEP_1)
	v_sub_nc_u16 v10, v11, v10
	scratch_store_b32 off, v10, off offset:220 ; 4-byte Folded Spill
	v_and_b32_e32 v10, 0xffff, v10
	v_lshlrev_b32_e32 v10, 4, v10
	global_load_b128 v[60:63], v10, s[10:11]
	s_waitcnt vmcnt(0) lgkmcnt(0)
	s_waitcnt_vscnt null, 0x0
	s_barrier
	buffer_gl0_inv
	scratch_store_b32 off, v5, off offset:240 ; 4-byte Folded Spill
	v_mul_f64 v[120:121], v[98:99], v[74:75]
	v_mul_f64 v[122:123], v[96:97], v[74:75]
	;; [unrolled: 1-line block ×10, first 2 shown]
	v_fma_f64 v[112:113], v[112:113], v[68:69], -v[116:117]
	v_fma_f64 v[114:115], v[114:115], v[68:69], v[118:119]
	v_fma_f64 v[116:117], v[96:97], v[72:73], -v[120:121]
	v_fma_f64 v[118:119], v[98:99], v[72:73], v[122:123]
	v_fma_f64 v[120:121], v[100:101], v[76:77], -v[124:125]
	v_fma_f64 v[108:109], v[108:109], v[64:65], -v[128:129]
	v_fma_f64 v[110:111], v[110:111], v[64:65], v[130:131]
	v_fma_f64 v[122:123], v[102:103], v[76:77], v[126:127]
	v_fma_f64 v[124:125], v[104:105], v[80:81], -v[132:133]
	v_fma_f64 v[126:127], v[106:107], v[80:81], v[134:135]
	v_mul_f64 v[128:129], v[94:95], v[62:63]
	v_mul_f64 v[130:131], v[92:93], v[62:63]
	v_add_f64 v[96:97], v[52:53], -v[112:113]
	v_add_f64 v[98:99], v[54:55], -v[114:115]
	;; [unrolled: 1-line block ×10, first 2 shown]
	v_fma_f64 v[92:93], v[92:93], v[60:61], -v[128:129]
	v_fma_f64 v[94:95], v[94:95], v[60:61], v[130:131]
	v_fma_f64 v[52:53], v[52:53], 2.0, -v[96:97]
	v_fma_f64 v[54:55], v[54:55], 2.0, -v[98:99]
	;; [unrolled: 1-line block ×10, first 2 shown]
	v_add_f64 v[156:157], v[48:49], -v[92:93]
	v_add_f64 v[158:159], v[50:51], -v[94:95]
	ds_store_b128 v5, v[52:55]
	ds_store_b128 v5, v[96:99] offset:176
	ds_store_b128 v4, v[56:59]
	scratch_store_b32 off, v4, off offset:236 ; 4-byte Folded Spill
	ds_store_b128 v4, v[100:103] offset:176
	ds_store_b128 v2, v[88:91]
	scratch_store_b32 off, v2, off offset:232 ; 4-byte Folded Spill
	;; [unrolled: 3-line block ×4, first 2 shown]
	ds_store_b128 v0, v[112:115] offset:176
	s_and_saveexec_b32 s0, vcc_lo
	s_cbranch_execz .LBB0_5
; %bb.4:
	s_clause 0x1
	scratch_load_b32 v0, off, off offset:216
	scratch_load_b32 v1, off, off offset:220
	v_fma_f64 v[46:47], v[50:51], 2.0, -v[158:159]
	v_fma_f64 v[44:45], v[48:49], 2.0, -v[156:157]
	s_waitcnt vmcnt(0)
	v_mad_u16 v0, v0, 22, v1
	s_delay_alu instid0(VALU_DEP_1) | instskip(NEXT) | instid1(VALU_DEP_1)
	v_and_b32_e32 v0, 0xffff, v0
	v_lshlrev_b32_e32 v0, 4, v0
	ds_store_b128 v0, v[44:47]
	ds_store_b128 v0, v[156:159] offset:176
.LBB0_5:
	s_or_b32 exec_lo, exec_lo, s0
	v_lshrrev_b16 v0, 1, v213
	s_waitcnt lgkmcnt(0)
	s_waitcnt_vscnt null, 0x0
	s_barrier
	buffer_gl0_inv
	s_mov_b32 s26, 0xf8bb580b
	v_and_b32_e32 v0, 0x7f, v0
	s_mov_b32 s18, 0xbb3a28a1
	s_mov_b32 s16, 0xfd768dbf
	s_mov_b32 s27, 0xbfe14ced
	s_mov_b32 s25, 0xbfed1bb4
	v_mul_lo_u16 v0, 0xbb, v0
	s_mov_b32 s24, 0x8eee2c13
	s_mov_b32 s19, 0xbfe82f19
	;; [unrolled: 1-line block ×4, first 2 shown]
	v_lshrrev_b16 v197, 11, v0
	s_mov_b32 s12, 0xd9c712b6
	s_mov_b32 s14, 0x640f44db
	;; [unrolled: 1-line block ×4, first 2 shown]
	v_mul_lo_u16 v0, v197, 22
	s_mov_b32 s23, 0x3feaeb8c
	s_mov_b32 s13, 0x3fda9628
	;; [unrolled: 1-line block ×4, first 2 shown]
	v_sub_nc_u16 v0, v213, v0
	s_mov_b32 s1, 0xbfeeb42a
	s_mov_b32 s29, 0x3fd207e7
	s_mov_b32 s28, s16
	s_mov_b32 s31, 0x3fefac9e
	v_and_b32_e32 v221, 0xff, v0
	s_mov_b32 s30, s20
	s_mov_b32 s35, 0x3fe14ced
	;; [unrolled: 1-line block ×3, first 2 shown]
	s_delay_alu instid0(VALU_DEP_1)
	v_mad_u64_u32 v[92:93], null, 0xa0, v221, s[10:11]
	s_clause 0x3
	global_load_b128 v[44:47], v[92:93], off offset:176
	global_load_b128 v[48:51], v[92:93], off offset:320
	;; [unrolled: 1-line block ×4, first 2 shown]
	ds_load_b128 v[88:91], v214 offset:2464
	ds_load_b128 v[84:87], v214 offset:24640
	ds_load_b128 v[94:97], v214
	s_waitcnt vmcnt(3) lgkmcnt(2)
	v_mul_f64 v[98:99], v[90:91], v[46:47]
	v_mul_f64 v[102:103], v[88:89], v[46:47]
	s_waitcnt vmcnt(2) lgkmcnt(1)
	v_mul_f64 v[104:105], v[84:85], v[50:51]
	v_mul_f64 v[106:107], v[86:87], v[50:51]
	s_delay_alu instid0(VALU_DEP_4) | instskip(NEXT) | instid1(VALU_DEP_4)
	v_fma_f64 v[98:99], v[88:89], v[44:45], -v[98:99]
	v_fma_f64 v[102:103], v[90:91], v[44:45], v[102:103]
	ds_load_b128 v[88:91], v214 offset:4928
	v_fma_f64 v[146:147], v[86:87], v[48:49], v[104:105]
	v_fma_f64 v[144:145], v[84:85], v[48:49], -v[106:107]
	ds_load_b128 v[84:87], v214 offset:7392
	s_waitcnt vmcnt(1) lgkmcnt(1)
	v_mul_f64 v[104:105], v[90:91], v[54:55]
	v_add_f64 v[191:192], v[102:103], v[146:147]
	s_delay_alu instid0(VALU_DEP_2) | instskip(SKIP_1) | instid1(VALU_DEP_1)
	v_fma_f64 v[148:149], v[88:89], v[52:53], -v[104:105]
	v_mul_f64 v[88:89], v[88:89], v[54:55]
	v_fma_f64 v[150:151], v[90:91], v[52:53], v[88:89]
	ds_load_b128 v[88:91], v214 offset:22176
	ds_load_b128 v[112:115], v214 offset:19712
	s_waitcnt vmcnt(0) lgkmcnt(1)
	v_mul_f64 v[104:105], v[88:89], v[58:59]
	s_delay_alu instid0(VALU_DEP_1)
	v_fma_f64 v[152:153], v[90:91], v[56:57], v[104:105]
	s_clause 0x3
	global_load_b128 v[128:131], v[92:93], off offset:208
	global_load_b128 v[104:107], v[92:93], off offset:224
	;; [unrolled: 1-line block ×4, first 2 shown]
	v_mul_f64 v[90:91], v[90:91], v[58:59]
	v_add_f64 v[226:227], v[150:151], v[152:153]
	s_delay_alu instid0(VALU_DEP_2) | instskip(NEXT) | instid1(VALU_DEP_1)
	v_fma_f64 v[154:155], v[88:89], v[56:57], -v[90:91]
	v_add_f64 v[222:223], v[148:149], v[154:155]
	s_waitcnt vmcnt(3)
	v_mul_f64 v[88:89], v[86:87], v[130:131]
	s_delay_alu instid0(VALU_DEP_1) | instskip(SKIP_1) | instid1(VALU_DEP_1)
	v_fma_f64 v[164:165], v[84:85], v[128:129], -v[88:89]
	v_mul_f64 v[84:85], v[84:85], v[130:131]
	v_fma_f64 v[166:167], v[86:87], v[128:129], v[84:85]
	s_waitcnt vmcnt(1) lgkmcnt(0)
	v_mul_f64 v[84:85], v[112:113], v[122:123]
	s_delay_alu instid0(VALU_DEP_1) | instskip(SKIP_1) | instid1(VALU_DEP_2)
	v_fma_f64 v[168:169], v[114:115], v[120:121], v[84:85]
	v_mul_f64 v[84:85], v[114:115], v[122:123]
	v_add_f64 v[230:231], v[166:167], -v[168:169]
	s_delay_alu instid0(VALU_DEP_2)
	v_fma_f64 v[170:171], v[112:113], v[120:121], -v[84:85]
	ds_load_b128 v[84:87], v214 offset:9856
	ds_load_b128 v[88:91], v214 offset:12320
	v_add_f64 v[236:237], v[166:167], v[168:169]
	s_waitcnt lgkmcnt(1)
	v_mul_f64 v[112:113], v[86:87], v[106:107]
	v_mul_f64 v[28:29], v[230:231], s[26:27]
	v_add_f64 v[232:233], v[164:165], v[170:171]
	v_add_f64 v[234:235], v[164:165], -v[170:171]
	s_delay_alu instid0(VALU_DEP_4) | instskip(SKIP_1) | instid1(VALU_DEP_4)
	v_fma_f64 v[172:173], v[84:85], v[104:105], -v[112:113]
	v_mul_f64 v[84:85], v[84:85], v[106:107]
	v_fma_f64 v[30:31], v[232:233], s[22:23], -v[28:29]
	s_delay_alu instid0(VALU_DEP_4) | instskip(NEXT) | instid1(VALU_DEP_3)
	v_mul_f64 v[238:239], v[234:235], s[28:29]
	v_fma_f64 v[174:175], v[86:87], v[104:105], v[84:85]
	ds_load_b128 v[84:87], v214 offset:17248
	ds_load_b128 v[112:115], v214 offset:14784
	s_waitcnt vmcnt(0) lgkmcnt(1)
	v_mul_f64 v[116:117], v[86:87], v[110:111]
	s_delay_alu instid0(VALU_DEP_1)
	v_fma_f64 v[176:177], v[84:85], v[108:109], -v[116:117]
	s_clause 0x1
	global_load_b128 v[124:127], v[92:93], off offset:240
	global_load_b128 v[116:119], v[92:93], off offset:256
	v_mul_f64 v[84:85], v[84:85], v[110:111]
	s_waitcnt vmcnt(0) lgkmcnt(0)
	s_barrier
	buffer_gl0_inv
	v_add_f64 v[242:243], v[172:173], v[176:177]
	v_add_f64 v[246:247], v[172:173], -v[176:177]
	v_fma_f64 v[178:179], v[86:87], v[108:109], v[84:85]
	s_delay_alu instid0(VALU_DEP_2) | instskip(NEXT) | instid1(VALU_DEP_2)
	v_mul_f64 v[250:251], v[246:247], s[30:31]
	v_add_f64 v[240:241], v[174:175], -v[178:179]
	v_add_f64 v[248:249], v[174:175], v[178:179]
	s_delay_alu instid0(VALU_DEP_2) | instskip(SKIP_2) | instid1(VALU_DEP_3)
	v_mul_f64 v[16:17], v[240:241], s[26:27]
	v_mul_f64 v[244:245], v[240:241], s[30:31]
	v_mul_f64 v[32:33], v[240:241], s[16:17]
	v_fma_f64 v[18:19], v[242:243], s[22:23], -v[16:17]
	s_delay_alu instid0(VALU_DEP_2) | instskip(SKIP_1) | instid1(VALU_DEP_1)
	v_fma_f64 v[34:35], v[242:243], s[0:1], -v[32:33]
	v_mul_f64 v[84:85], v[90:91], v[126:127]
	v_fma_f64 v[183:184], v[88:89], v[124:125], -v[84:85]
	v_mul_f64 v[84:85], v[88:89], v[126:127]
	s_delay_alu instid0(VALU_DEP_1) | instskip(SKIP_1) | instid1(VALU_DEP_1)
	v_fma_f64 v[185:186], v[90:91], v[124:125], v[84:85]
	v_mul_f64 v[84:85], v[114:115], v[118:119]
	v_fma_f64 v[187:188], v[112:113], v[116:117], -v[84:85]
	v_mul_f64 v[84:85], v[112:113], v[118:119]
	v_add_f64 v[112:113], v[98:99], v[144:145]
	s_delay_alu instid0(VALU_DEP_3) | instskip(NEXT) | instid1(VALU_DEP_3)
	v_add_f64 v[254:255], v[183:184], v[187:188]
	v_fma_f64 v[189:190], v[114:115], v[116:117], v[84:85]
	v_add_f64 v[84:85], v[102:103], -v[146:147]
	v_add_f64 v[102:103], v[96:97], v[102:103]
	v_add_f64 v[219:220], v[183:184], -v[187:188]
	s_delay_alu instid0(VALU_DEP_4) | instskip(NEXT) | instid1(VALU_DEP_4)
	v_add_f64 v[252:253], v[185:186], -v[189:190]
	v_mul_f64 v[86:87], v[84:85], s[26:27]
	v_mul_f64 v[88:89], v[84:85], s[24:25]
	;; [unrolled: 1-line block ×5, first 2 shown]
	v_add_f64 v[215:216], v[185:186], v[189:190]
	v_mul_f64 v[211:212], v[219:220], s[34:35]
	v_mul_f64 v[20:21], v[252:253], s[18:19]
	v_fma_f64 v[114:115], v[112:113], s[22:23], -v[86:87]
	v_fma_f64 v[86:87], v[112:113], s[22:23], v[86:87]
	v_fma_f64 v[132:133], v[112:113], s[12:13], -v[88:89]
	v_fma_f64 v[88:89], v[112:113], s[12:13], v[88:89]
	;; [unrolled: 2-line block ×5, first 2 shown]
	v_add_f64 v[112:113], v[98:99], -v[144:145]
	v_mul_f64 v[217:218], v[252:253], s[34:35]
	v_mul_f64 v[100:101], v[252:253], s[20:21]
	v_fma_f64 v[22:23], v[254:255], s[8:9], -v[20:21]
	v_add_f64 v[207:208], v[94:95], v[114:115]
	v_add_f64 v[209:210], v[94:95], v[86:87]
	;; [unrolled: 1-line block ×6, first 2 shown]
	v_mul_f64 v[140:141], v[112:113], s[26:27]
	v_mul_f64 v[142:143], v[112:113], s[24:25]
	;; [unrolled: 1-line block ×5, first 2 shown]
	v_fma_f64 v[205:206], v[191:192], s[22:23], -v[140:141]
	v_fma_f64 v[193:194], v[191:192], s[12:13], v[142:143]
	v_fma_f64 v[142:143], v[191:192], s[12:13], -v[142:143]
	v_fma_f64 v[195:196], v[191:192], s[14:15], v[160:161]
	;; [unrolled: 2-line block ×5, first 2 shown]
	v_add_f64 v[191:192], v[94:95], v[98:99]
	v_add_f64 v[205:206], v[96:97], v[205:206]
	;; [unrolled: 1-line block ×13, first 2 shown]
	v_add_f64 v[96:97], v[150:151], -v[152:153]
	v_add_f64 v[160:161], v[148:149], -v[154:155]
	v_add_f64 v[195:196], v[94:95], v[90:91]
	v_add_f64 v[94:95], v[94:95], v[84:85]
	s_delay_alu instid0(VALU_DEP_4) | instskip(NEXT) | instid1(VALU_DEP_4)
	v_mul_f64 v[224:225], v[96:97], s[18:19]
	v_mul_f64 v[228:229], v[160:161], s[18:19]
	v_mul_f64 v[0:1], v[96:97], s[28:29]
	v_mul_f64 v[8:9], v[96:97], s[24:25]
	v_mul_f64 v[10:11], v[160:161], s[24:25]
	s_mov_b32 s25, 0x3fed1bb4
	v_mul_f64 v[4:5], v[160:161], s[28:29]
	v_mul_f64 v[12:13], v[230:231], s[24:25]
	;; [unrolled: 1-line block ×5, first 2 shown]
	v_fma_f64 v[84:85], v[222:223], s[8:9], -v[224:225]
	v_fma_f64 v[2:3], v[222:223], s[0:1], -v[0:1]
	v_fma_f64 v[0:1], v[222:223], s[0:1], v[0:1]
	v_fma_f64 v[6:7], v[226:227], s[0:1], v[4:5]
	v_fma_f64 v[14:15], v[232:233], s[12:13], -v[12:13]
	v_fma_f64 v[26:27], v[226:227], s[14:15], v[24:25]
	v_fma_f64 v[38:39], v[254:255], s[12:13], -v[36:37]
	v_fma_f64 v[42:43], v[248:249], s[12:13], v[40:41]
	v_fma_f64 v[40:41], v[248:249], s[12:13], -v[40:41]
	v_fma_f64 v[24:25], v[226:227], s[14:15], -v[24:25]
	v_fma_f64 v[4:5], v[226:227], s[0:1], -v[4:5]
	v_add_f64 v[84:85], v[84:85], v[86:87]
	v_fma_f64 v[86:87], v[226:227], s[8:9], v[228:229]
	v_add_f64 v[2:3], v[2:3], v[88:89]
	v_add_f64 v[0:1], v[0:1], v[195:196]
	;; [unrolled: 1-line block ×7, first 2 shown]
	v_mul_f64 v[98:99], v[230:231], s[28:29]
	v_add_f64 v[2:3], v[14:15], v[2:3]
	v_mul_f64 v[14:15], v[234:235], s[24:25]
	s_delay_alu instid0(VALU_DEP_3) | instskip(NEXT) | instid1(VALU_DEP_3)
	v_fma_f64 v[90:91], v[232:233], s[0:1], -v[98:99]
	v_add_f64 v[2:3], v[18:19], v[2:3]
	s_delay_alu instid0(VALU_DEP_3) | instskip(SKIP_1) | instid1(VALU_DEP_4)
	v_fma_f64 v[88:89], v[236:237], s[12:13], v[14:15]
	v_mul_f64 v[18:19], v[246:247], s[26:27]
	v_add_f64 v[84:85], v[90:91], v[84:85]
	v_fma_f64 v[90:91], v[236:237], s[0:1], v[238:239]
	s_delay_alu instid0(VALU_DEP_4) | instskip(NEXT) | instid1(VALU_DEP_4)
	v_add_f64 v[6:7], v[88:89], v[6:7]
	v_fma_f64 v[88:89], v[248:249], s[22:23], v[18:19]
	s_delay_alu instid0(VALU_DEP_3) | instskip(SKIP_1) | instid1(VALU_DEP_3)
	v_add_f64 v[86:87], v[90:91], v[86:87]
	v_fma_f64 v[90:91], v[242:243], s[14:15], -v[244:245]
	v_add_f64 v[6:7], v[88:89], v[6:7]
	v_add_f64 v[88:89], v[22:23], v[2:3]
	v_mul_f64 v[2:3], v[219:220], s[18:19]
	s_delay_alu instid0(VALU_DEP_4) | instskip(SKIP_1) | instid1(VALU_DEP_3)
	v_add_f64 v[84:85], v[90:91], v[84:85]
	v_fma_f64 v[90:91], v[248:249], s[14:15], v[250:251]
	v_fma_f64 v[22:23], v[215:216], s[8:9], v[2:3]
	v_fma_f64 v[2:3], v[215:216], s[8:9], -v[2:3]
	s_delay_alu instid0(VALU_DEP_3) | instskip(SKIP_1) | instid1(VALU_DEP_1)
	v_add_f64 v[86:87], v[90:91], v[86:87]
	v_fma_f64 v[90:91], v[254:255], s[22:23], -v[217:218]
	v_add_f64 v[84:85], v[90:91], v[84:85]
	v_fma_f64 v[90:91], v[215:216], s[22:23], v[211:212]
	s_delay_alu instid0(VALU_DEP_1) | instskip(SKIP_2) | instid1(VALU_DEP_1)
	v_add_f64 v[86:87], v[90:91], v[86:87]
	v_add_f64 v[90:91], v[22:23], v[6:7]
	v_mul_f64 v[6:7], v[96:97], s[30:31]
	v_fma_f64 v[22:23], v[222:223], s[14:15], -v[6:7]
	v_fma_f64 v[6:7], v[222:223], s[14:15], v[6:7]
	s_delay_alu instid0(VALU_DEP_2) | instskip(NEXT) | instid1(VALU_DEP_2)
	v_add_f64 v[22:23], v[22:23], v[132:133]
	v_add_f64 v[6:7], v[6:7], v[92:93]
	s_delay_alu instid0(VALU_DEP_2) | instskip(SKIP_1) | instid1(VALU_DEP_2)
	v_add_f64 v[22:23], v[30:31], v[22:23]
	v_mul_f64 v[30:31], v[234:235], s[26:27]
	v_add_f64 v[22:23], v[34:35], v[22:23]
	s_delay_alu instid0(VALU_DEP_2) | instskip(SKIP_1) | instid1(VALU_DEP_2)
	v_fma_f64 v[112:113], v[236:237], s[22:23], v[30:31]
	v_mul_f64 v[34:35], v[246:247], s[16:17]
	v_add_f64 v[26:27], v[112:113], v[26:27]
	s_delay_alu instid0(VALU_DEP_2) | instskip(NEXT) | instid1(VALU_DEP_1)
	v_fma_f64 v[112:113], v[248:249], s[0:1], v[34:35]
	v_add_f64 v[26:27], v[112:113], v[26:27]
	v_add_f64 v[112:113], v[38:39], v[22:23]
	v_mul_f64 v[22:23], v[219:220], s[24:25]
	s_delay_alu instid0(VALU_DEP_1) | instskip(SKIP_1) | instid1(VALU_DEP_2)
	v_fma_f64 v[38:39], v[215:216], s[12:13], v[22:23]
	v_fma_f64 v[22:23], v[215:216], s[12:13], -v[22:23]
	v_add_f64 v[114:115], v[38:39], v[26:27]
	v_mul_f64 v[26:27], v[96:97], s[34:35]
	v_mul_f64 v[96:97], v[160:161], s[34:35]
	;; [unrolled: 1-line block ×3, first 2 shown]
	s_delay_alu instid0(VALU_DEP_3) | instskip(NEXT) | instid1(VALU_DEP_3)
	v_fma_f64 v[38:39], v[222:223], s[22:23], -v[26:27]
	v_fma_f64 v[132:133], v[226:227], s[22:23], v[96:97]
	v_fma_f64 v[26:27], v[222:223], s[22:23], v[26:27]
	s_delay_alu instid0(VALU_DEP_3) | instskip(SKIP_1) | instid1(VALU_DEP_4)
	v_add_f64 v[38:39], v[38:39], v[136:137]
	v_mul_f64 v[136:137], v[230:231], s[18:19]
	v_add_f64 v[132:133], v[132:133], v[138:139]
	v_mul_f64 v[138:139], v[234:235], s[18:19]
	v_add_f64 v[26:27], v[26:27], v[94:95]
	s_delay_alu instid0(VALU_DEP_4) | instskip(SKIP_1) | instid1(VALU_DEP_2)
	v_fma_f64 v[134:135], v[232:233], s[8:9], -v[136:137]
	v_fma_f64 v[94:95], v[232:233], s[8:9], v[136:137]
	v_add_f64 v[38:39], v[134:135], v[38:39]
	v_fma_f64 v[134:135], v[236:237], s[8:9], v[138:139]
	s_delay_alu instid0(VALU_DEP_3) | instskip(SKIP_1) | instid1(VALU_DEP_3)
	v_add_f64 v[26:27], v[94:95], v[26:27]
	v_fma_f64 v[94:95], v[236:237], s[8:9], -v[138:139]
	v_add_f64 v[132:133], v[134:135], v[132:133]
	v_fma_f64 v[134:135], v[242:243], s[12:13], -v[160:161]
	s_delay_alu instid0(VALU_DEP_2) | instskip(NEXT) | instid1(VALU_DEP_2)
	v_add_f64 v[42:43], v[42:43], v[132:133]
	v_add_f64 v[38:39], v[134:135], v[38:39]
	v_fma_f64 v[132:133], v[254:255], s[14:15], -v[100:101]
	s_delay_alu instid0(VALU_DEP_1) | instskip(SKIP_1) | instid1(VALU_DEP_1)
	v_add_f64 v[132:133], v[132:133], v[38:39]
	v_mul_f64 v[38:39], v[219:220], s[20:21]
	v_fma_f64 v[134:135], v[215:216], s[14:15], v[38:39]
	v_fma_f64 v[38:39], v[215:216], s[14:15], -v[38:39]
	s_delay_alu instid0(VALU_DEP_2) | instskip(SKIP_1) | instid1(VALU_DEP_1)
	v_add_f64 v[134:135], v[134:135], v[42:43]
	v_fma_f64 v[42:43], v[226:227], s[22:23], -v[96:97]
	v_add_f64 v[42:43], v[42:43], v[201:202]
	s_delay_alu instid0(VALU_DEP_1) | instskip(SKIP_1) | instid1(VALU_DEP_2)
	v_add_f64 v[42:43], v[94:95], v[42:43]
	v_fma_f64 v[94:95], v[242:243], s[12:13], v[160:161]
	v_add_f64 v[40:41], v[40:41], v[42:43]
	s_delay_alu instid0(VALU_DEP_2) | instskip(SKIP_1) | instid1(VALU_DEP_3)
	v_add_f64 v[26:27], v[94:95], v[26:27]
	v_fma_f64 v[42:43], v[254:255], s[14:15], v[100:101]
	v_add_f64 v[138:139], v[38:39], v[40:41]
	s_delay_alu instid0(VALU_DEP_2) | instskip(SKIP_1) | instid1(VALU_DEP_1)
	v_add_f64 v[136:137], v[42:43], v[26:27]
	v_fma_f64 v[26:27], v[232:233], s[22:23], v[28:29]
	v_add_f64 v[6:7], v[26:27], v[6:7]
	v_fma_f64 v[26:27], v[236:237], s[22:23], -v[30:31]
	s_delay_alu instid0(VALU_DEP_1) | instskip(SKIP_1) | instid1(VALU_DEP_1)
	v_add_f64 v[24:25], v[26:27], v[24:25]
	v_fma_f64 v[26:27], v[242:243], s[0:1], v[32:33]
	v_add_f64 v[6:7], v[26:27], v[6:7]
	v_fma_f64 v[26:27], v[248:249], s[0:1], -v[34:35]
	s_delay_alu instid0(VALU_DEP_1) | instskip(SKIP_1) | instid1(VALU_DEP_2)
	v_add_f64 v[24:25], v[26:27], v[24:25]
	v_fma_f64 v[26:27], v[254:255], s[12:13], v[36:37]
	v_add_f64 v[162:163], v[22:23], v[24:25]
	s_delay_alu instid0(VALU_DEP_2) | instskip(SKIP_1) | instid1(VALU_DEP_1)
	v_add_f64 v[160:161], v[26:27], v[6:7]
	v_fma_f64 v[6:7], v[232:233], s[12:13], v[12:13]
	v_add_f64 v[0:1], v[6:7], v[0:1]
	v_fma_f64 v[6:7], v[236:237], s[12:13], -v[14:15]
	s_delay_alu instid0(VALU_DEP_1) | instskip(SKIP_1) | instid1(VALU_DEP_1)
	v_add_f64 v[4:5], v[6:7], v[4:5]
	v_fma_f64 v[6:7], v[242:243], s[22:23], v[16:17]
	v_add_f64 v[0:1], v[6:7], v[0:1]
	v_fma_f64 v[6:7], v[248:249], s[22:23], -v[18:19]
	v_mul_f64 v[18:19], v[219:220], s[16:17]
	s_delay_alu instid0(VALU_DEP_2) | instskip(SKIP_1) | instid1(VALU_DEP_2)
	v_add_f64 v[4:5], v[6:7], v[4:5]
	v_fma_f64 v[6:7], v[254:255], s[8:9], v[20:21]
	v_add_f64 v[94:95], v[2:3], v[4:5]
	s_delay_alu instid0(VALU_DEP_2) | instskip(SKIP_4) | instid1(VALU_DEP_4)
	v_add_f64 v[92:93], v[6:7], v[0:1]
	v_fma_f64 v[0:1], v[222:223], s[8:9], v[224:225]
	v_fma_f64 v[2:3], v[226:227], s[8:9], -v[228:229]
	v_fma_f64 v[4:5], v[232:233], s[0:1], v[98:99]
	v_fma_f64 v[6:7], v[215:216], s[22:23], -v[211:212]
	v_add_f64 v[0:1], v[0:1], v[193:194]
	s_delay_alu instid0(VALU_DEP_4) | instskip(NEXT) | instid1(VALU_DEP_2)
	v_add_f64 v[2:3], v[2:3], v[142:143]
	v_add_f64 v[0:1], v[4:5], v[0:1]
	v_fma_f64 v[4:5], v[236:237], s[0:1], -v[238:239]
	s_delay_alu instid0(VALU_DEP_1) | instskip(SKIP_1) | instid1(VALU_DEP_1)
	v_add_f64 v[2:3], v[4:5], v[2:3]
	v_fma_f64 v[4:5], v[242:243], s[14:15], v[244:245]
	v_add_f64 v[0:1], v[4:5], v[0:1]
	v_fma_f64 v[4:5], v[248:249], s[14:15], -v[250:251]
	s_delay_alu instid0(VALU_DEP_1) | instskip(SKIP_1) | instid1(VALU_DEP_2)
	v_add_f64 v[2:3], v[4:5], v[2:3]
	v_fma_f64 v[4:5], v[254:255], s[22:23], v[217:218]
	v_add_f64 v[98:99], v[6:7], v[2:3]
	s_delay_alu instid0(VALU_DEP_2) | instskip(SKIP_3) | instid1(VALU_DEP_3)
	v_add_f64 v[96:97], v[4:5], v[0:1]
	v_fma_f64 v[0:1], v[222:223], s[12:13], -v[8:9]
	v_mul_f64 v[4:5], v[230:231], s[20:21]
	v_fma_f64 v[2:3], v[226:227], s[12:13], v[10:11]
	v_add_f64 v[0:1], v[0:1], v[207:208]
	s_delay_alu instid0(VALU_DEP_3) | instskip(NEXT) | instid1(VALU_DEP_3)
	v_fma_f64 v[6:7], v[232:233], s[14:15], -v[4:5]
	v_add_f64 v[2:3], v[2:3], v[140:141]
	v_fma_f64 v[4:5], v[232:233], s[14:15], v[4:5]
	s_delay_alu instid0(VALU_DEP_3) | instskip(SKIP_1) | instid1(VALU_DEP_1)
	v_add_f64 v[0:1], v[6:7], v[0:1]
	v_mul_f64 v[6:7], v[234:235], s[20:21]
	v_fma_f64 v[12:13], v[236:237], s[14:15], v[6:7]
	v_fma_f64 v[6:7], v[236:237], s[14:15], -v[6:7]
	s_delay_alu instid0(VALU_DEP_2) | instskip(SKIP_1) | instid1(VALU_DEP_1)
	v_add_f64 v[2:3], v[12:13], v[2:3]
	v_mul_f64 v[12:13], v[240:241], s[18:19]
	v_fma_f64 v[14:15], v[242:243], s[8:9], -v[12:13]
	s_delay_alu instid0(VALU_DEP_1) | instskip(SKIP_1) | instid1(VALU_DEP_1)
	v_add_f64 v[0:1], v[14:15], v[0:1]
	v_mul_f64 v[14:15], v[246:247], s[18:19]
	v_fma_f64 v[16:17], v[248:249], s[8:9], v[14:15]
	s_delay_alu instid0(VALU_DEP_1) | instskip(SKIP_1) | instid1(VALU_DEP_1)
	v_add_f64 v[2:3], v[16:17], v[2:3]
	v_mul_f64 v[16:17], v[252:253], s[16:17]
	v_fma_f64 v[20:21], v[254:255], s[0:1], -v[16:17]
	s_delay_alu instid0(VALU_DEP_1) | instskip(SKIP_1) | instid1(VALU_DEP_1)
	v_add_f64 v[140:141], v[20:21], v[0:1]
	v_fma_f64 v[0:1], v[215:216], s[0:1], v[18:19]
	v_add_f64 v[142:143], v[0:1], v[2:3]
	v_add_f64 v[0:1], v[191:192], v[148:149]
	;; [unrolled: 1-line block ×3, first 2 shown]
	s_delay_alu instid0(VALU_DEP_2) | instskip(NEXT) | instid1(VALU_DEP_2)
	v_add_f64 v[0:1], v[0:1], v[164:165]
	v_add_f64 v[2:3], v[2:3], v[166:167]
	s_delay_alu instid0(VALU_DEP_2) | instskip(NEXT) | instid1(VALU_DEP_2)
	v_add_f64 v[0:1], v[0:1], v[172:173]
	v_add_f64 v[2:3], v[2:3], v[174:175]
                                        ; implicit-def: $vgpr172_vgpr173
	s_delay_alu instid0(VALU_DEP_2) | instskip(NEXT) | instid1(VALU_DEP_2)
	v_add_f64 v[0:1], v[0:1], v[183:184]
	v_add_f64 v[2:3], v[2:3], v[185:186]
	s_delay_alu instid0(VALU_DEP_2) | instskip(NEXT) | instid1(VALU_DEP_2)
	v_add_f64 v[0:1], v[0:1], v[187:188]
	v_add_f64 v[2:3], v[2:3], v[189:190]
	;; [unrolled: 3-line block ×3, first 2 shown]
                                        ; implicit-def: $vgpr176_vgpr177
	s_delay_alu instid0(VALU_DEP_2) | instskip(NEXT) | instid1(VALU_DEP_2)
	v_add_f64 v[0:1], v[0:1], v[170:171]
	v_add_f64 v[2:3], v[2:3], v[168:169]
	s_delay_alu instid0(VALU_DEP_2) | instskip(NEXT) | instid1(VALU_DEP_2)
	v_add_f64 v[0:1], v[0:1], v[154:155]
	v_add_f64 v[2:3], v[2:3], v[152:153]
	;; [unrolled: 3-line block ×3, first 2 shown]
	v_fma_f64 v[0:1], v[222:223], s[12:13], v[8:9]
	v_fma_f64 v[2:3], v[226:227], s[12:13], -v[10:11]
	v_fma_f64 v[8:9], v[242:243], s[8:9], v[12:13]
	v_fma_f64 v[10:11], v[248:249], s[8:9], -v[14:15]
	s_delay_alu instid0(VALU_DEP_4) | instskip(NEXT) | instid1(VALU_DEP_4)
	v_add_f64 v[0:1], v[0:1], v[209:210]
	v_add_f64 v[2:3], v[2:3], v[205:206]
	s_delay_alu instid0(VALU_DEP_2) | instskip(NEXT) | instid1(VALU_DEP_2)
	v_add_f64 v[0:1], v[4:5], v[0:1]
	v_add_f64 v[2:3], v[6:7], v[2:3]
	v_fma_f64 v[4:5], v[254:255], s[0:1], v[16:17]
	v_fma_f64 v[6:7], v[215:216], s[0:1], -v[18:19]
	v_cmp_gt_u16_e64 s0, 0x58, v213
	v_add_f64 v[0:1], v[8:9], v[0:1]
	v_add_f64 v[2:3], v[10:11], v[2:3]
	s_delay_alu instid0(VALU_DEP_2) | instskip(NEXT) | instid1(VALU_DEP_2)
	v_add_f64 v[168:169], v[4:5], v[0:1]
	v_add_f64 v[170:171], v[6:7], v[2:3]
	v_and_b32_e32 v0, 0xffff, v197
	s_delay_alu instid0(VALU_DEP_1) | instskip(NEXT) | instid1(VALU_DEP_1)
	v_mul_u32_u24_e32 v0, 0xf2, v0
	v_add_lshl_u32 v222, v0, v221, 4
	ds_store_b128 v222, v[84:87] offset:704
	ds_store_b128 v222, v[88:91] offset:1056
	;; [unrolled: 1-line block ×5, first 2 shown]
	ds_store_b128 v222, v[144:147]
	ds_store_b128 v222, v[136:139] offset:2112
	ds_store_b128 v222, v[160:163] offset:2464
	;; [unrolled: 1-line block ×5, first 2 shown]
	s_waitcnt lgkmcnt(0)
	s_barrier
	buffer_gl0_inv
	ds_load_b128 v[164:167], v214
	ds_load_b128 v[144:147], v214 offset:3872
	ds_load_b128 v[140:143], v214 offset:7744
	;; [unrolled: 1-line block ×6, first 2 shown]
	s_and_saveexec_b32 s1, s0
	s_cbranch_execz .LBB0_7
; %bb.6:
	ds_load_b128 v[160:163], v214 offset:2464
	ds_load_b128 v[92:95], v214 offset:6336
	;; [unrolled: 1-line block ×7, first 2 shown]
.LBB0_7:
	s_or_b32 exec_lo, exec_lo, s1
	v_mad_u64_u32 v[0:1], null, 0x60, v213, s[10:11]
	v_add_nc_u32_e32 v24, 0xffffffa8, v213
	s_mov_b32 s14, 0xe976ee23
	s_mov_b32 s15, 0xbfe11646
	;; [unrolled: 1-line block ×4, first 2 shown]
	v_cndmask_b32_e64 v24, v24, v182, s0
	s_clause 0x1
	global_load_b128 v[132:135], v[0:1], off offset:3696
	global_load_b128 v[136:139], v[0:1], off offset:3712
	s_mov_b32 s8, 0x36b3c0b5
	s_mov_b32 s18, 0x37c3f68c
	;; [unrolled: 1-line block ×3, first 2 shown]
	v_mul_i32_i24_e32 v25, 0x60, v24
	v_mul_hi_i32_i24_e32 v26, 0x60, v24
	s_mov_b32 s9, 0x3fac98ee
	s_mov_b32 s19, 0x3fdc38aa
	s_mov_b32 s21, 0x3fe948f6
	v_add_co_u32 v24, s1, s10, v25
	s_delay_alu instid0(VALU_DEP_1)
	v_add_co_ci_u32_e64 v25, s1, s11, v26, s1
	s_mov_b32 s10, 0xaaaaaaaa
	s_mov_b32 s11, 0xbff2aaaa
	;; [unrolled: 1-line block ×10, first 2 shown]
	s_waitcnt vmcnt(1) lgkmcnt(5)
	v_mul_f64 v[2:3], v[146:147], v[134:135]
	v_mul_f64 v[4:5], v[144:145], v[134:135]
	s_waitcnt vmcnt(0) lgkmcnt(4)
	v_mul_f64 v[6:7], v[142:143], v[138:139]
	v_mul_f64 v[8:9], v[140:141], v[138:139]
	s_delay_alu instid0(VALU_DEP_4) | instskip(NEXT) | instid1(VALU_DEP_4)
	v_fma_f64 v[2:3], v[144:145], v[132:133], -v[2:3]
	v_fma_f64 v[4:5], v[146:147], v[132:133], v[4:5]
	s_delay_alu instid0(VALU_DEP_4) | instskip(NEXT) | instid1(VALU_DEP_4)
	v_fma_f64 v[6:7], v[140:141], v[136:137], -v[6:7]
	v_fma_f64 v[8:9], v[142:143], v[136:137], v[8:9]
	s_clause 0x5
	global_load_b128 v[140:143], v[0:1], off offset:3776
	global_load_b128 v[144:147], v[0:1], off offset:3760
	;; [unrolled: 1-line block ×6, first 2 shown]
	s_waitcnt vmcnt(5) lgkmcnt(0)
	v_mul_f64 v[10:11], v[114:115], v[142:143]
	v_mul_f64 v[12:13], v[112:113], v[142:143]
	s_waitcnt vmcnt(1)
	v_mul_f64 v[26:27], v[94:95], v[32:33]
	v_mul_f64 v[28:29], v[92:93], v[32:33]
	scratch_store_b128 off, v[30:33], off offset:244 ; 16-byte Folded Spill
	s_waitcnt vmcnt(0)
	scratch_store_b128 off, v[34:37], off offset:260 ; 16-byte Folded Spill
	v_mul_f64 v[32:33], v[96:97], v[36:37]
	v_mul_f64 v[14:15], v[102:103], v[146:147]
	;; [unrolled: 1-line block ×7, first 2 shown]
	v_fma_f64 v[10:11], v[112:113], v[140:141], -v[10:11]
	v_fma_f64 v[12:13], v[114:115], v[140:141], v[12:13]
	v_fma_f64 v[26:27], v[92:93], v[30:31], -v[26:27]
	v_fma_f64 v[28:29], v[94:95], v[30:31], v[28:29]
	v_mul_f64 v[30:31], v[98:99], v[36:37]
	v_fma_f64 v[32:33], v[98:99], v[34:35], v[32:33]
	v_fma_f64 v[14:15], v[100:101], v[144:145], -v[14:15]
	v_fma_f64 v[16:17], v[102:103], v[144:145], v[16:17]
	v_fma_f64 v[0:1], v[88:89], v[148:149], -v[0:1]
	v_fma_f64 v[20:21], v[84:85], v[152:153], -v[20:21]
	v_fma_f64 v[18:19], v[90:91], v[148:149], v[18:19]
	v_fma_f64 v[22:23], v[86:87], v[152:153], v[22:23]
	v_fma_f64 v[30:31], v[96:97], v[34:35], -v[30:31]
	s_clause 0x1
	global_load_b128 v[38:41], v[24:25], off offset:3776
	global_load_b128 v[96:99], v[24:25], off offset:3760
	v_add_f64 v[182:183], v[18:19], v[22:23]
	s_waitcnt vmcnt(1)
	scratch_store_b128 off, v[38:41], off offset:276 ; 16-byte Folded Spill
	s_clause 0x1
	global_load_b128 v[100:103], v[24:25], off offset:3728
	global_load_b128 v[112:115], v[24:25], off offset:3744
	v_mul_f64 v[34:35], v[178:179], v[40:41]
	v_mul_f64 v[36:37], v[176:177], v[40:41]
	s_waitcnt vmcnt(2)
	v_mul_f64 v[40:41], v[172:173], v[98:99]
	s_delay_alu instid0(VALU_DEP_3) | instskip(NEXT) | instid1(VALU_DEP_3)
	v_fma_f64 v[34:35], v[176:177], v[38:39], -v[34:35]
	v_fma_f64 v[36:37], v[178:179], v[38:39], v[36:37]
	v_mul_f64 v[38:39], v[174:175], v[98:99]
	s_delay_alu instid0(VALU_DEP_4)
	v_fma_f64 v[40:41], v[174:175], v[96:97], v[40:41]
	v_add_f64 v[176:177], v[0:1], v[20:21]
	v_add_f64 v[178:179], v[4:5], v[12:13]
	;; [unrolled: 1-line block ×3, first 2 shown]
	v_add_f64 v[0:1], v[20:21], -v[0:1]
	v_add_f64 v[8:9], v[8:9], -v[16:17]
	;; [unrolled: 1-line block ×3, first 2 shown]
	v_fma_f64 v[38:39], v[172:173], v[96:97], -v[38:39]
	v_add_f64 v[186:187], v[174:175], -v[178:179]
	s_waitcnt vmcnt(1)
	v_mul_f64 v[24:25], v[170:171], v[102:103]
	v_mul_f64 v[42:43], v[168:169], v[102:103]
	s_delay_alu instid0(VALU_DEP_2) | instskip(SKIP_2) | instid1(VALU_DEP_3)
	v_fma_f64 v[24:25], v[168:169], v[100:101], -v[24:25]
	s_waitcnt vmcnt(0)
	v_mul_f64 v[168:169], v[158:159], v[114:115]
	v_fma_f64 v[42:43], v[170:171], v[100:101], v[42:43]
	v_add_f64 v[170:171], v[6:7], v[14:15]
	v_add_f64 v[6:7], v[6:7], -v[14:15]
	s_delay_alu instid0(VALU_DEP_4)
	v_fma_f64 v[194:195], v[156:157], v[112:113], -v[168:169]
	v_mul_f64 v[156:157], v[156:157], v[114:115]
	v_add_f64 v[168:169], v[2:3], v[10:11]
	v_add_f64 v[2:3], v[2:3], -v[10:11]
	v_add_f64 v[10:11], v[22:23], -v[18:19]
	;; [unrolled: 1-line block ×5, first 2 shown]
	v_fma_f64 v[196:197], v[158:159], v[112:113], v[156:157]
	v_add_f64 v[156:157], v[170:171], v[168:169]
	v_add_f64 v[14:15], v[6:7], -v[2:3]
	v_add_f64 v[6:7], v[0:1], v[6:7]
	v_add_f64 v[16:17], v[10:11], -v[8:9]
	v_mul_f64 v[12:13], v[12:13], s[14:15]
	v_add_f64 v[8:9], v[10:11], v[8:9]
	v_add_f64 v[22:23], v[170:171], -v[168:169]
	v_add_f64 v[168:169], v[168:169], -v[176:177]
	v_add_f64 v[170:171], v[182:183], -v[174:175]
	v_add_f64 v[0:1], v[2:3], -v[0:1]
	v_add_f64 v[172:173], v[176:177], v[156:157]
	v_add_f64 v[156:157], v[174:175], v[178:179]
	;; [unrolled: 1-line block ×3, first 2 shown]
	v_mul_f64 v[16:17], v[16:17], s[14:15]
	v_add_f64 v[176:177], v[178:179], -v[182:183]
	v_add_f64 v[8:9], v[8:9], v[4:5]
	v_add_f64 v[2:3], v[4:5], -v[10:11]
	v_mul_f64 v[4:5], v[14:15], s[12:13]
	v_mul_f64 v[10:11], v[18:19], s[12:13]
	v_add_f64 v[184:185], v[182:183], v[156:157]
	v_add_f64 v[156:157], v[164:165], v[172:173]
	v_mul_f64 v[164:165], v[20:21], s[8:9]
	v_fma_f64 v[4:5], v[0:1], s[26:27], -v[4:5]
	v_fma_f64 v[10:11], v[2:3], s[26:27], -v[10:11]
	v_fma_f64 v[0:1], v[0:1], s[24:25], v[12:13]
	v_fma_f64 v[2:3], v[2:3], s[24:25], v[16:17]
	v_add_f64 v[158:159], v[166:167], v[184:185]
	v_fma_f64 v[188:189], v[172:173], s[10:11], v[156:157]
	v_fma_f64 v[172:173], v[14:15], s[12:13], -v[12:13]
	v_mul_f64 v[14:15], v[168:169], s[20:21]
	v_fma_f64 v[164:165], v[22:23], s[16:17], -v[164:165]
	v_mul_f64 v[166:167], v[170:171], s[8:9]
	v_fma_f64 v[4:5], v[6:7], s[18:19], v[4:5]
	v_fma_f64 v[10:11], v[8:9], s[18:19], v[10:11]
	;; [unrolled: 1-line block ×4, first 2 shown]
	v_add_f64 v[12:13], v[42:43], v[196:197]
	v_fma_f64 v[190:191], v[184:185], s[10:11], v[158:159]
	v_fma_f64 v[174:175], v[6:7], s[18:19], v[172:173]
	v_fma_f64 v[172:173], v[18:19], s[12:13], -v[16:17]
	v_mul_f64 v[18:19], v[176:177], s[20:21]
	v_fma_f64 v[22:23], v[22:23], s[22:23], -v[14:15]
	v_add_f64 v[184:185], v[164:165], v[188:189]
	v_fma_f64 v[166:167], v[186:187], s[16:17], -v[166:167]
	v_add_f64 v[16:17], v[30:31], -v[38:39]
	v_fma_f64 v[172:173], v[8:9], s[18:19], v[172:173]
	v_fma_f64 v[168:169], v[186:187], s[22:23], -v[18:19]
	v_add_f64 v[22:23], v[22:23], v[188:189]
	v_add_f64 v[8:9], v[28:29], v[36:37]
	;; [unrolled: 1-line block ×3, first 2 shown]
	v_add_f64 v[164:165], v[184:185], -v[172:173]
	v_add_f64 v[168:169], v[168:169], v[190:191]
	v_add_f64 v[172:173], v[172:173], v[184:185]
	;; [unrolled: 1-line block ×3, first 2 shown]
	v_add_f64 v[182:183], v[22:23], -v[10:11]
	v_fma_f64 v[10:11], v[170:171], s[8:9], v[18:19]
	v_add_f64 v[166:167], v[174:175], v[192:193]
	v_add_f64 v[174:175], v[192:193], -v[174:175]
	v_add_f64 v[18:19], v[194:195], -v[24:25]
	;; [unrolled: 1-line block ×4, first 2 shown]
	v_add_f64 v[184:185], v[4:5], v[168:169]
	v_fma_f64 v[4:5], v[20:21], s[8:9], v[14:15]
	v_add_f64 v[20:21], v[32:33], -v[40:41]
	v_add_f64 v[6:7], v[10:11], v[190:191]
	v_add_f64 v[10:11], v[32:33], v[40:41]
	s_delay_alu instid0(VALU_DEP_4) | instskip(NEXT) | instid1(VALU_DEP_4)
	v_add_f64 v[4:5], v[4:5], v[188:189]
	v_add_f64 v[32:33], v[22:23], -v[20:21]
	s_delay_alu instid0(VALU_DEP_4)
	v_add_f64 v[188:189], v[6:7], -v[0:1]
	v_add_f64 v[192:193], v[0:1], v[6:7]
	v_add_f64 v[0:1], v[26:27], v[34:35]
	;; [unrolled: 1-line block ×4, first 2 shown]
	v_add_f64 v[190:191], v[4:5], -v[2:3]
	v_add_f64 v[2:3], v[30:31], v[38:39]
	v_add_f64 v[4:5], v[24:25], v[194:195]
	v_add_f64 v[24:25], v[26:27], -v[34:35]
	v_add_f64 v[14:15], v[12:13], v[14:15]
	v_add_f64 v[26:27], v[28:29], -v[36:37]
	v_add_f64 v[30:31], v[18:19], -v[16:17]
	ds_store_b128 v214, v[156:159]
	ds_store_b128 v214, v[186:189] offset:3872
	ds_store_b128 v214, v[176:179] offset:7744
	;; [unrolled: 1-line block ×6, first 2 shown]
	v_add_f64 v[6:7], v[2:3], v[0:1]
	v_add_f64 v[28:29], v[4:5], -v[2:3]
	v_add_f64 v[170:171], v[162:163], v[14:15]
	s_delay_alu instid0(VALU_DEP_3)
	v_add_f64 v[6:7], v[4:5], v[6:7]
	v_add_f64 v[4:5], v[0:1], -v[4:5]
	v_add_f64 v[0:1], v[2:3], -v[0:1]
	;; [unrolled: 1-line block ×5, first 2 shown]
	v_add_f64 v[10:11], v[18:19], v[16:17]
	v_add_f64 v[16:17], v[16:17], -v[24:25]
	v_add_f64 v[18:19], v[24:25], -v[18:19]
	v_add_f64 v[168:169], v[160:161], v[6:7]
	v_mul_f64 v[4:5], v[4:5], s[20:21]
	v_mul_f64 v[12:13], v[12:13], s[20:21]
	v_add_f64 v[10:11], v[10:11], v[24:25]
	v_add_f64 v[24:25], v[22:23], v[20:21]
	v_add_f64 v[20:21], v[20:21], -v[26:27]
	v_add_f64 v[22:23], v[26:27], -v[22:23]
	v_fma_f64 v[6:7], v[6:7], s[10:11], v[168:169]
	s_delay_alu instid0(VALU_DEP_4) | instskip(SKIP_2) | instid1(VALU_DEP_2)
	v_add_f64 v[24:25], v[24:25], v[26:27]
	v_mul_f64 v[26:27], v[30:31], s[14:15]
	v_mul_f64 v[30:31], v[16:17], s[12:13]
	v_fma_f64 v[16:17], v[16:17], s[12:13], -v[26:27]
	v_fma_f64 v[26:27], v[18:19], s[24:25], v[26:27]
	s_delay_alu instid0(VALU_DEP_3)
	v_fma_f64 v[18:19], v[18:19], s[26:27], -v[30:31]
	v_mul_f64 v[30:31], v[32:33], s[14:15]
	v_mul_f64 v[32:33], v[20:21], s[12:13]
	v_fma_f64 v[192:193], v[10:11], s[18:19], v[16:17]
	v_fma_f64 v[174:175], v[10:11], s[18:19], v[26:27]
	;; [unrolled: 1-line block ×3, first 2 shown]
	v_fma_f64 v[20:21], v[20:21], s[12:13], -v[30:31]
	v_fma_f64 v[30:31], v[22:23], s[24:25], v[30:31]
	v_fma_f64 v[22:23], v[22:23], s[26:27], -v[32:33]
	v_mul_f64 v[32:33], v[28:29], s[8:9]
	s_delay_alu instid0(VALU_DEP_4) | instskip(NEXT) | instid1(VALU_DEP_4)
	v_fma_f64 v[172:173], v[24:25], s[18:19], v[20:21]
	v_fma_f64 v[176:177], v[24:25], s[18:19], v[30:31]
	s_delay_alu instid0(VALU_DEP_4) | instskip(NEXT) | instid1(VALU_DEP_4)
	v_fma_f64 v[178:179], v[24:25], s[18:19], v[22:23]
	v_fma_f64 v[32:33], v[0:1], s[16:17], -v[32:33]
	v_fma_f64 v[0:1], v[0:1], s[22:23], -v[4:5]
	v_fma_f64 v[4:5], v[28:29], s[8:9], v[4:5]
	v_mul_f64 v[28:29], v[2:3], s[8:9]
	v_fma_f64 v[2:3], v[2:3], s[8:9], v[12:13]
	v_add_f64 v[182:183], v[32:33], v[6:7]
	v_add_f64 v[184:185], v[0:1], v[6:7]
	v_fma_f64 v[0:1], v[14:15], s[10:11], v[170:171]
	v_fma_f64 v[28:29], v[8:9], s[16:17], -v[28:29]
	v_fma_f64 v[8:9], v[8:9], s[22:23], -v[12:13]
	v_add_f64 v[186:187], v[4:5], v[6:7]
	v_add_f64 v[164:165], v[172:173], v[182:183]
	;; [unrolled: 1-line block ×5, first 2 shown]
	v_add_f64 v[0:1], v[184:185], -v[178:179]
	s_delay_alu instid0(VALU_DEP_3) | instskip(NEXT) | instid1(VALU_DEP_3)
	v_add_f64 v[166:167], v[196:197], -v[192:193]
	v_add_f64 v[2:3], v[188:189], v[194:195]
	scratch_store_b128 off, v[0:3], off     ; 16-byte Folded Spill
	v_add_f64 v[0:1], v[186:187], -v[176:177]
	v_add_f64 v[2:3], v[174:175], v[190:191]
	scratch_store_b128 off, v[0:3], off offset:16 ; 16-byte Folded Spill
	s_and_saveexec_b32 s1, s0
	s_cbranch_execz .LBB0_9
; %bb.8:
	scratch_load_b128 v[0:3], off, off      ; 16-byte Folded Reload
	v_add_f64 v[192:193], v[192:193], v[196:197]
	v_add_f64 v[188:189], v[194:195], -v[188:189]
	v_add_f64 v[196:197], v[190:191], -v[174:175]
	v_add_f64 v[194:195], v[176:177], v[186:187]
	v_add_f64 v[186:187], v[178:179], v[184:185]
	v_add_f64 v[190:191], v[182:183], -v[172:173]
	ds_store_b128 v214, v[164:167] offset:17952
	s_waitcnt vmcnt(0)
	ds_store_b128 v214, v[0:3] offset:21824
	ds_store_b128 v214, v[168:171] offset:2464
	;; [unrolled: 1-line block ×5, first 2 shown]
	scratch_load_b128 v[0:3], off, off offset:16 ; 16-byte Folded Reload
	s_waitcnt vmcnt(0)
	ds_store_b128 v214, v[0:3] offset:25696
.LBB0_9:
	s_or_b32 exec_lo, exec_lo, s1
	s_waitcnt lgkmcnt(0)
	s_waitcnt_vscnt null, 0x0
	s_barrier
	buffer_gl0_inv
	global_load_b128 v[168:171], v[180:181], off offset:2528
	v_add_co_u32 v0, s1, 0x69e0, v198
	s_delay_alu instid0(VALU_DEP_1)
	v_add_co_ci_u32_e64 v1, s1, 0, v199, s1
	s_mov_b32 s20, 0xf8bb580b
	s_mov_b32 s38, 0x8eee2c13
	s_mov_b32 s36, 0x43842ef
	global_load_b128 v[172:175], v[0:1], off offset:2464
	v_add_co_u32 v0, s1, 0x7000, v198
	s_delay_alu instid0(VALU_DEP_1)
	v_add_co_ci_u32_e64 v1, s1, 0, v199, s1
	s_mov_b32 s18, 0xbb3a28a1
	s_mov_b32 s34, 0xfd768dbf
	s_mov_b32 s21, 0xbfe14ced
	;; [unrolled: 7-line block ×3, first 2 shown]
	global_load_b128 v[180:183], v[0:1], off offset:1728
	v_add_co_u32 v0, s1, 0x9000, v198
	s_delay_alu instid0(VALU_DEP_1)
	v_add_co_ci_u32_e64 v1, s1, 0, v199, s1
	s_clause 0x1
	global_load_b128 v[184:187], v[0:1], off offset:96
	global_load_b128 v[188:191], v[0:1], off offset:2560
	ds_load_b128 v[192:195], v214
	ds_load_b128 v[201:204], v214 offset:2464
	s_mov_b32 s35, 0xbfd207e7
	s_mov_b32 s16, 0x8764f0ba
	;; [unrolled: 1-line block ×21, first 2 shown]
	s_waitcnt vmcnt(5) lgkmcnt(1)
	v_mul_f64 v[0:1], v[194:195], v[170:171]
	v_mul_f64 v[2:3], v[192:193], v[170:171]
	s_waitcnt vmcnt(4) lgkmcnt(0)
	v_mul_f64 v[4:5], v[203:204], v[174:175]
	s_delay_alu instid0(VALU_DEP_3) | instskip(SKIP_1) | instid1(VALU_DEP_4)
	v_fma_f64 v[192:193], v[192:193], v[168:169], -v[0:1]
	v_mul_f64 v[0:1], v[201:202], v[174:175]
	v_fma_f64 v[194:195], v[194:195], v[168:169], v[2:3]
	ds_load_b128 v[168:171], v214 offset:4928
	v_fma_f64 v[201:202], v[201:202], v[172:173], -v[4:5]
	v_fma_f64 v[203:204], v[203:204], v[172:173], v[0:1]
	ds_load_b128 v[172:175], v214 offset:7392
	s_waitcnt vmcnt(3) lgkmcnt(1)
	v_mul_f64 v[0:1], v[170:171], v[178:179]
	v_mul_f64 v[2:3], v[168:169], v[178:179]
	s_waitcnt vmcnt(2) lgkmcnt(0)
	v_mul_f64 v[4:5], v[174:175], v[182:183]
	s_delay_alu instid0(VALU_DEP_3) | instskip(SKIP_1) | instid1(VALU_DEP_4)
	v_fma_f64 v[168:169], v[168:169], v[176:177], -v[0:1]
	v_mul_f64 v[0:1], v[172:173], v[182:183]
	v_fma_f64 v[170:171], v[170:171], v[176:177], v[2:3]
	ds_load_b128 v[176:179], v214 offset:9856
	v_fma_f64 v[172:173], v[172:173], v[180:181], -v[4:5]
	v_add_co_u32 v4, s1, 0xa000, v198
	s_delay_alu instid0(VALU_DEP_1)
	v_add_co_ci_u32_e64 v5, s1, 0, v199, s1
	v_fma_f64 v[174:175], v[174:175], v[180:181], v[0:1]
	ds_load_b128 v[180:183], v214 offset:12320
	s_waitcnt vmcnt(1) lgkmcnt(1)
	v_mul_f64 v[0:1], v[178:179], v[186:187]
	v_mul_f64 v[2:3], v[176:177], v[186:187]
	s_delay_alu instid0(VALU_DEP_2) | instskip(NEXT) | instid1(VALU_DEP_2)
	v_fma_f64 v[176:177], v[176:177], v[184:185], -v[0:1]
	v_fma_f64 v[178:179], v[178:179], v[184:185], v[2:3]
	s_waitcnt vmcnt(0) lgkmcnt(0)
	v_mul_f64 v[0:1], v[182:183], v[190:191]
	global_load_b128 v[184:187], v[4:5], off offset:928
	v_mul_f64 v[2:3], v[180:181], v[190:191]
	v_fma_f64 v[180:181], v[180:181], v[188:189], -v[0:1]
	s_delay_alu instid0(VALU_DEP_2)
	v_fma_f64 v[182:183], v[182:183], v[188:189], v[2:3]
	global_load_b128 v[188:191], v[4:5], off offset:3392
	ds_load_b128 v[205:208], v214 offset:14784
	ds_load_b128 v[223:226], v214 offset:17248
	s_waitcnt vmcnt(1) lgkmcnt(1)
	v_mul_f64 v[0:1], v[207:208], v[186:187]
	v_mul_f64 v[2:3], v[205:206], v[186:187]
	s_delay_alu instid0(VALU_DEP_2) | instskip(NEXT) | instid1(VALU_DEP_2)
	v_fma_f64 v[205:206], v[205:206], v[184:185], -v[0:1]
	v_fma_f64 v[207:208], v[207:208], v[184:185], v[2:3]
	s_waitcnt vmcnt(0) lgkmcnt(0)
	v_mul_f64 v[0:1], v[225:226], v[190:191]
	v_mul_f64 v[2:3], v[223:224], v[190:191]
	s_delay_alu instid0(VALU_DEP_2) | instskip(SKIP_1) | instid1(VALU_DEP_1)
	v_fma_f64 v[184:185], v[223:224], v[188:189], -v[0:1]
	v_add_co_u32 v0, s1, 0xb000, v198
	v_add_co_ci_u32_e64 v1, s1, 0, v199, s1
	s_delay_alu instid0(VALU_DEP_4) | instskip(SKIP_2) | instid1(VALU_DEP_1)
	v_fma_f64 v[186:187], v[225:226], v[188:189], v[2:3]
	global_load_b128 v[188:191], v[0:1], off offset:1760
	v_add_co_u32 v0, s1, 0xc000, v198
	v_add_co_ci_u32_e64 v1, s1, 0, v199, s1
	global_load_b128 v[196:199], v[0:1], off offset:128
	ds_load_b128 v[223:226], v214 offset:19712
	ds_load_b128 v[227:230], v214 offset:22176
	s_waitcnt vmcnt(1) lgkmcnt(1)
	v_mul_f64 v[2:3], v[225:226], v[190:191]
	v_mul_f64 v[4:5], v[223:224], v[190:191]
	s_delay_alu instid0(VALU_DEP_2) | instskip(NEXT) | instid1(VALU_DEP_2)
	v_fma_f64 v[223:224], v[223:224], v[188:189], -v[2:3]
	v_fma_f64 v[225:226], v[225:226], v[188:189], v[4:5]
	s_waitcnt vmcnt(0) lgkmcnt(0)
	v_mul_f64 v[2:3], v[229:230], v[198:199]
	v_mul_f64 v[4:5], v[227:228], v[198:199]
	s_delay_alu instid0(VALU_DEP_2) | instskip(NEXT) | instid1(VALU_DEP_2)
	v_fma_f64 v[188:189], v[227:228], v[196:197], -v[2:3]
	v_fma_f64 v[190:191], v[229:230], v[196:197], v[4:5]
	global_load_b128 v[196:199], v[0:1], off offset:2592
	ds_load_b128 v[227:230], v214 offset:24640
	s_waitcnt vmcnt(0) lgkmcnt(0)
	v_mul_f64 v[0:1], v[229:230], v[198:199]
	v_mul_f64 v[2:3], v[227:228], v[198:199]
	s_delay_alu instid0(VALU_DEP_2) | instskip(NEXT) | instid1(VALU_DEP_2)
	v_fma_f64 v[227:228], v[227:228], v[196:197], -v[0:1]
	v_fma_f64 v[229:230], v[229:230], v[196:197], v[2:3]
	ds_store_b128 v214, v[192:195]
	ds_store_b128 v214, v[201:204] offset:2464
	ds_store_b128 v214, v[168:171] offset:4928
	;; [unrolled: 1-line block ×10, first 2 shown]
	s_waitcnt lgkmcnt(0)
	s_barrier
	buffer_gl0_inv
	ds_load_b128 v[168:171], v214
	ds_load_b128 v[172:175], v214 offset:2464
	ds_load_b128 v[176:179], v214 offset:4928
	;; [unrolled: 1-line block ×7, first 2 shown]
	s_waitcnt lgkmcnt(6)
	v_add_f64 v[0:1], v[168:169], v[172:173]
	v_add_f64 v[2:3], v[170:171], v[174:175]
	s_waitcnt lgkmcnt(1)
	v_add_f64 v[4:5], v[188:189], v[192:193]
	v_add_f64 v[6:7], v[190:191], v[194:195]
	v_add_f64 v[8:9], v[188:189], -v[192:193]
	v_add_f64 v[10:11], v[190:191], -v[194:195]
	s_waitcnt lgkmcnt(0)
	v_add_f64 v[12:13], v[184:185], v[196:197]
	v_add_f64 v[14:15], v[186:187], v[198:199]
	v_add_f64 v[16:17], v[186:187], -v[198:199]
	v_add_f64 v[18:19], v[184:185], -v[196:197]
	v_add_f64 v[0:1], v[0:1], v[176:177]
	v_add_f64 v[2:3], v[2:3], v[178:179]
	v_mul_f64 v[245:246], v[6:7], s[16:17]
	v_mul_f64 v[229:230], v[10:11], s[34:35]
	;; [unrolled: 1-line block ×14, first 2 shown]
	v_add_f64 v[0:1], v[0:1], v[180:181]
	v_add_f64 v[2:3], v[2:3], v[182:183]
	v_fma_f64 v[158:159], v[12:13], s[16:17], v[156:157]
	v_fma_f64 v[86:87], v[4:5], s[10:11], v[84:85]
	;; [unrolled: 1-line block ×5, first 2 shown]
	v_add_f64 v[0:1], v[0:1], v[184:185]
	v_add_f64 v[2:3], v[2:3], v[186:187]
	s_delay_alu instid0(VALU_DEP_2) | instskip(NEXT) | instid1(VALU_DEP_2)
	v_add_f64 v[0:1], v[0:1], v[188:189]
	v_add_f64 v[2:3], v[2:3], v[190:191]
	ds_load_b128 v[184:187], v214 offset:19712
	ds_load_b128 v[188:191], v214 offset:22176
	s_waitcnt lgkmcnt(1)
	v_add_f64 v[20:21], v[182:183], -v[186:187]
	s_waitcnt lgkmcnt(0)
	v_add_f64 v[28:29], v[178:179], -v[190:191]
	v_add_f64 v[30:31], v[178:179], v[190:191]
	v_add_f64 v[32:33], v[176:177], v[188:189]
	v_add_f64 v[34:35], v[176:177], -v[188:189]
	ds_load_b128 v[176:179], v214 offset:24640
	v_add_f64 v[22:23], v[182:183], v[186:187]
	v_add_f64 v[24:25], v[180:181], v[184:185]
	v_add_f64 v[26:27], v[180:181], -v[184:185]
	s_waitcnt lgkmcnt(0)
	s_barrier
	buffer_gl0_inv
	v_add_f64 v[0:1], v[0:1], v[192:193]
	v_add_f64 v[2:3], v[2:3], v[194:195]
	v_add_f64 v[36:37], v[174:175], -v[178:179]
	v_add_f64 v[38:39], v[174:175], v[178:179]
	v_add_f64 v[40:41], v[172:173], v[176:177]
	v_add_f64 v[42:43], v[172:173], -v[176:177]
	v_mul_f64 v[219:220], v[20:21], s[36:37]
	v_mul_f64 v[215:216], v[28:29], s[38:39]
	;; [unrolled: 1-line block ×12, first 2 shown]
	v_add_f64 v[0:1], v[0:1], v[196:197]
	v_add_f64 v[2:3], v[2:3], v[198:199]
	v_mul_f64 v[192:193], v[38:39], s[10:11]
	v_mul_f64 v[194:195], v[38:39], s[8:9]
	s_delay_alu instid0(VALU_DEP_4) | instskip(NEXT) | instid1(VALU_DEP_4)
	v_add_f64 v[0:1], v[0:1], v[184:185]
	v_add_f64 v[2:3], v[2:3], v[186:187]
	s_delay_alu instid0(VALU_DEP_4)
	v_fma_f64 v[201:202], v[42:43], s[24:25], v[192:193]
	v_fma_f64 v[192:193], v[42:43], s[18:19], v[192:193]
	;; [unrolled: 1-line block ×4, first 2 shown]
	v_add_f64 v[0:1], v[0:1], v[188:189]
	v_add_f64 v[2:3], v[2:3], v[190:191]
	v_mul_f64 v[190:191], v[38:39], s[12:13]
	v_add_f64 v[201:202], v[170:171], v[201:202]
	v_add_f64 v[209:210], v[170:171], v[192:193]
	;; [unrolled: 1-line block ×6, first 2 shown]
	v_mul_f64 v[0:1], v[36:37], s[20:21]
	v_mul_f64 v[2:3], v[36:37], s[38:39]
	;; [unrolled: 1-line block ×5, first 2 shown]
	v_fma_f64 v[198:199], v[42:43], s[26:27], v[190:191]
	v_fma_f64 v[190:191], v[42:43], s[36:37], v[190:191]
	;; [unrolled: 1-line block ×3, first 2 shown]
	v_fma_f64 v[0:1], v[40:41], s[16:17], -v[0:1]
	v_fma_f64 v[182:183], v[40:41], s[14:15], v[2:3]
	v_fma_f64 v[2:3], v[40:41], s[14:15], -v[2:3]
	v_fma_f64 v[184:185], v[40:41], s[12:13], v[176:177]
	;; [unrolled: 2-line block ×4, first 2 shown]
	v_fma_f64 v[36:37], v[40:41], s[8:9], -v[36:37]
	v_mul_f64 v[40:41], v[38:39], s[14:15]
	v_mul_f64 v[38:39], v[38:39], s[16:17]
	v_add_f64 v[198:199], v[170:171], v[198:199]
	v_add_f64 v[211:212], v[170:171], v[190:191]
	;; [unrolled: 1-line block ×10, first 2 shown]
	v_fma_f64 v[196:197], v[42:43], s[28:29], v[40:41]
	v_fma_f64 v[205:206], v[42:43], s[20:21], v[38:39]
	;; [unrolled: 1-line block ×4, first 2 shown]
	v_add_f64 v[42:43], v[168:169], v[180:181]
	v_fma_f64 v[178:179], v[34:35], s[24:25], v[233:234]
	v_add_f64 v[196:197], v[170:171], v[196:197]
	v_add_f64 v[180:181], v[170:171], v[205:206]
	;; [unrolled: 1-line block ×3, first 2 shown]
	v_fma_f64 v[168:169], v[32:33], s[14:15], -v[215:216]
	v_add_f64 v[40:41], v[170:171], v[40:41]
	v_add_f64 v[38:39], v[170:171], v[38:39]
	v_fma_f64 v[170:171], v[24:25], s[12:13], -v[219:220]
	v_add_f64 v[178:179], v[178:179], v[196:197]
	v_mul_f64 v[196:197], v[30:31], s[12:13]
	v_mul_f64 v[30:31], v[30:31], s[16:17]
	v_add_f64 v[0:1], v[168:169], v[0:1]
	v_fma_f64 v[168:169], v[34:35], s[38:39], v[217:218]
	s_delay_alu instid0(VALU_DEP_2) | instskip(NEXT) | instid1(VALU_DEP_2)
	v_add_f64 v[0:1], v[170:171], v[0:1]
	v_add_f64 v[168:169], v[168:169], v[180:181]
	v_fma_f64 v[170:171], v[26:27], s[36:37], v[223:224]
	v_fma_f64 v[180:181], v[24:25], s[8:9], v[235:236]
	s_delay_alu instid0(VALU_DEP_2) | instskip(SKIP_1) | instid1(VALU_DEP_1)
	v_add_f64 v[168:169], v[170:171], v[168:169]
	v_fma_f64 v[170:171], v[12:13], s[10:11], -v[225:226]
	v_add_f64 v[0:1], v[170:171], v[0:1]
	v_fma_f64 v[170:171], v[18:19], s[18:19], v[227:228]
	s_delay_alu instid0(VALU_DEP_1) | instskip(SKIP_1) | instid1(VALU_DEP_1)
	v_add_f64 v[170:171], v[170:171], v[168:169]
	v_fma_f64 v[168:169], v[4:5], s[8:9], -v[229:230]
	v_add_f64 v[168:169], v[168:169], v[0:1]
	v_mul_f64 v[0:1], v[6:7], s[8:9]
	s_delay_alu instid0(VALU_DEP_1) | instskip(SKIP_1) | instid1(VALU_DEP_2)
	v_fma_f64 v[176:177], v[8:9], s[34:35], v[0:1]
	v_fma_f64 v[0:1], v[8:9], s[22:23], v[0:1]
	v_add_f64 v[170:171], v[176:177], v[170:171]
	v_fma_f64 v[176:177], v[32:33], s[10:11], v[231:232]
	s_delay_alu instid0(VALU_DEP_1) | instskip(SKIP_1) | instid1(VALU_DEP_2)
	v_add_f64 v[176:177], v[176:177], v[182:183]
	v_fma_f64 v[182:183], v[34:35], s[34:35], v[249:250]
	v_add_f64 v[176:177], v[180:181], v[176:177]
	v_fma_f64 v[180:181], v[26:27], s[34:35], v[237:238]
	s_delay_alu instid0(VALU_DEP_3) | instskip(SKIP_2) | instid1(VALU_DEP_4)
	v_add_f64 v[182:183], v[182:183], v[198:199]
	v_mul_f64 v[198:199], v[20:21], s[20:21]
	v_mul_f64 v[20:21], v[20:21], s[18:19]
	v_add_f64 v[178:179], v[180:181], v[178:179]
	v_fma_f64 v[180:181], v[12:13], s[12:13], v[239:240]
	s_delay_alu instid0(VALU_DEP_3) | instskip(SKIP_1) | instid1(VALU_DEP_3)
	v_fma_f64 v[190:191], v[24:25], s[10:11], v[20:21]
	v_fma_f64 v[20:21], v[24:25], s[10:11], -v[20:21]
	v_add_f64 v[176:177], v[180:181], v[176:177]
	v_fma_f64 v[180:181], v[18:19], s[36:37], v[241:242]
	s_delay_alu instid0(VALU_DEP_1) | instskip(SKIP_1) | instid1(VALU_DEP_1)
	v_add_f64 v[178:179], v[180:181], v[178:179]
	v_fma_f64 v[180:181], v[4:5], s[16:17], v[243:244]
	v_add_f64 v[176:177], v[180:181], v[176:177]
	v_fma_f64 v[180:181], v[8:9], s[20:21], v[245:246]
	s_delay_alu instid0(VALU_DEP_1) | instskip(SKIP_1) | instid1(VALU_DEP_1)
	v_add_f64 v[178:179], v[180:181], v[178:179]
	v_fma_f64 v[180:181], v[32:33], s[8:9], v[247:248]
	v_add_f64 v[180:181], v[180:181], v[184:185]
	v_fma_f64 v[184:185], v[24:25], s[14:15], v[251:252]
	s_delay_alu instid0(VALU_DEP_1) | instskip(SKIP_1) | instid1(VALU_DEP_2)
	v_add_f64 v[180:181], v[184:185], v[180:181]
	v_fma_f64 v[184:185], v[26:27], s[38:39], v[253:254]
	v_add_f64 v[158:159], v[158:159], v[180:181]
	s_delay_alu instid0(VALU_DEP_2) | instskip(SKIP_1) | instid1(VALU_DEP_3)
	v_add_f64 v[182:183], v[184:185], v[182:183]
	v_fma_f64 v[184:185], v[34:35], s[36:37], v[196:197]
	v_add_f64 v[180:181], v[86:87], v[158:159]
	v_mul_f64 v[86:87], v[6:7], s[10:11]
	s_delay_alu instid0(VALU_DEP_4) | instskip(NEXT) | instid1(VALU_DEP_4)
	v_add_f64 v[162:163], v[162:163], v[182:183]
	v_add_f64 v[184:185], v[184:185], v[201:202]
	v_mul_f64 v[201:202], v[22:23], s[16:17]
	v_mul_f64 v[22:23], v[22:23], s[10:11]
	v_fma_f64 v[158:159], v[8:9], s[24:25], v[86:87]
	s_delay_alu instid0(VALU_DEP_1) | instskip(SKIP_2) | instid1(VALU_DEP_2)
	v_add_f64 v[182:183], v[158:159], v[162:163]
	v_mul_f64 v[158:159], v[28:29], s[26:27]
	v_mul_f64 v[28:29], v[28:29], s[30:31]
	v_fma_f64 v[162:163], v[32:33], s[12:13], v[158:159]
	s_delay_alu instid0(VALU_DEP_1) | instskip(SKIP_1) | instid1(VALU_DEP_1)
	v_add_f64 v[162:163], v[162:163], v[186:187]
	v_fma_f64 v[186:187], v[24:25], s[16:17], v[198:199]
	v_add_f64 v[162:163], v[186:187], v[162:163]
	v_fma_f64 v[186:187], v[26:27], s[30:31], v[201:202]
	s_delay_alu instid0(VALU_DEP_2) | instskip(SKIP_1) | instid1(VALU_DEP_3)
	v_add_f64 v[90:91], v[90:91], v[162:163]
	v_mul_f64 v[162:163], v[14:15], s[8:9]
	v_add_f64 v[184:185], v[186:187], v[184:185]
	v_mul_f64 v[14:15], v[14:15], s[14:15]
	s_delay_alu instid0(VALU_DEP_3) | instskip(NEXT) | instid1(VALU_DEP_1)
	v_fma_f64 v[186:187], v[18:19], s[22:23], v[162:163]
	v_add_f64 v[186:187], v[186:187], v[184:185]
	v_add_f64 v[184:185], v[94:95], v[90:91]
	v_mul_f64 v[90:91], v[6:7], s[14:15]
	v_mul_f64 v[6:7], v[6:7], s[12:13]
	s_delay_alu instid0(VALU_DEP_2) | instskip(NEXT) | instid1(VALU_DEP_1)
	v_fma_f64 v[94:95], v[8:9], s[38:39], v[90:91]
	v_add_f64 v[186:187], v[94:95], v[186:187]
	v_fma_f64 v[94:95], v[32:33], s[16:17], v[28:29]
	v_fma_f64 v[28:29], v[32:33], s[16:17], -v[28:29]
	s_delay_alu instid0(VALU_DEP_2) | instskip(SKIP_2) | instid1(VALU_DEP_4)
	v_add_f64 v[94:95], v[94:95], v[188:189]
	v_fma_f64 v[188:189], v[34:35], s[20:21], v[30:31]
	v_fma_f64 v[30:31], v[34:35], s[30:31], v[30:31]
	v_add_f64 v[28:29], v[28:29], v[36:37]
	s_delay_alu instid0(VALU_DEP_4) | instskip(NEXT) | instid1(VALU_DEP_4)
	v_add_f64 v[94:95], v[190:191], v[94:95]
	v_add_f64 v[188:189], v[188:189], v[203:204]
	v_fma_f64 v[190:191], v[26:27], s[24:25], v[22:23]
	v_add_f64 v[30:31], v[30:31], v[194:195]
	v_fma_f64 v[22:23], v[26:27], s[18:19], v[22:23]
	v_add_f64 v[20:21], v[20:21], v[28:29]
	s_delay_alu instid0(VALU_DEP_4) | instskip(SKIP_1) | instid1(VALU_DEP_4)
	v_add_f64 v[188:189], v[190:191], v[188:189]
	v_fma_f64 v[190:191], v[12:13], s[14:15], v[16:17]
	v_add_f64 v[22:23], v[22:23], v[30:31]
	v_fma_f64 v[16:17], v[12:13], s[14:15], -v[16:17]
	s_delay_alu instid0(VALU_DEP_3) | instskip(SKIP_2) | instid1(VALU_DEP_4)
	v_add_f64 v[94:95], v[190:191], v[94:95]
	v_fma_f64 v[190:191], v[18:19], s[38:39], v[14:15]
	v_fma_f64 v[14:15], v[18:19], s[28:29], v[14:15]
	v_add_f64 v[16:17], v[16:17], v[20:21]
	s_delay_alu instid0(VALU_DEP_3) | instskip(SKIP_1) | instid1(VALU_DEP_4)
	v_add_f64 v[190:191], v[190:191], v[188:189]
	v_fma_f64 v[188:189], v[4:5], s[12:13], v[10:11]
	v_add_f64 v[14:15], v[14:15], v[22:23]
	v_fma_f64 v[10:11], v[4:5], s[12:13], -v[10:11]
	s_delay_alu instid0(VALU_DEP_3) | instskip(SKIP_2) | instid1(VALU_DEP_4)
	v_add_f64 v[188:189], v[188:189], v[94:95]
	v_fma_f64 v[94:95], v[8:9], s[26:27], v[6:7]
	v_fma_f64 v[6:7], v[8:9], s[36:37], v[6:7]
	v_add_f64 v[192:193], v[10:11], v[16:17]
	v_fma_f64 v[10:11], v[34:35], s[26:27], v[196:197]
	v_fma_f64 v[16:17], v[8:9], s[28:29], v[90:91]
	v_add_f64 v[190:191], v[94:95], v[190:191]
	v_add_f64 v[194:195], v[6:7], v[14:15]
	v_fma_f64 v[6:7], v[32:33], s[12:13], -v[158:159]
	v_fma_f64 v[14:15], v[24:25], s[16:17], -v[198:199]
	v_add_f64 v[10:11], v[10:11], v[209:210]
	s_delay_alu instid0(VALU_DEP_3) | instskip(NEXT) | instid1(VALU_DEP_1)
	v_add_f64 v[6:7], v[6:7], v[207:208]
	v_add_f64 v[6:7], v[14:15], v[6:7]
	v_fma_f64 v[14:15], v[26:27], s[20:21], v[201:202]
	s_delay_alu instid0(VALU_DEP_1) | instskip(SKIP_1) | instid1(VALU_DEP_1)
	v_add_f64 v[10:11], v[14:15], v[10:11]
	v_fma_f64 v[14:15], v[12:13], s[8:9], -v[88:89]
	v_add_f64 v[6:7], v[14:15], v[6:7]
	v_fma_f64 v[14:15], v[18:19], s[34:35], v[162:163]
	s_delay_alu instid0(VALU_DEP_1) | instskip(SKIP_1) | instid1(VALU_DEP_2)
	v_add_f64 v[10:11], v[14:15], v[10:11]
	v_fma_f64 v[14:15], v[4:5], s[14:15], -v[92:93]
	v_add_f64 v[198:199], v[16:17], v[10:11]
	s_delay_alu instid0(VALU_DEP_2) | instskip(SKIP_4) | instid1(VALU_DEP_4)
	v_add_f64 v[196:197], v[14:15], v[6:7]
	v_fma_f64 v[6:7], v[32:33], s[8:9], -v[247:248]
	v_fma_f64 v[10:11], v[34:35], s[22:23], v[249:250]
	v_fma_f64 v[14:15], v[24:25], s[14:15], -v[251:252]
	v_fma_f64 v[16:17], v[8:9], s[18:19], v[86:87]
	v_add_f64 v[6:7], v[6:7], v[205:206]
	s_delay_alu instid0(VALU_DEP_4) | instskip(NEXT) | instid1(VALU_DEP_2)
	v_add_f64 v[10:11], v[10:11], v[211:212]
	v_add_f64 v[6:7], v[14:15], v[6:7]
	v_fma_f64 v[14:15], v[26:27], s[28:29], v[253:254]
	s_delay_alu instid0(VALU_DEP_1) | instskip(SKIP_1) | instid1(VALU_DEP_1)
	v_add_f64 v[10:11], v[14:15], v[10:11]
	v_fma_f64 v[14:15], v[12:13], s[16:17], -v[156:157]
	v_add_f64 v[6:7], v[14:15], v[6:7]
	v_fma_f64 v[14:15], v[18:19], s[20:21], v[160:161]
	s_delay_alu instid0(VALU_DEP_1) | instskip(SKIP_1) | instid1(VALU_DEP_2)
	v_add_f64 v[10:11], v[14:15], v[10:11]
	v_fma_f64 v[14:15], v[4:5], s[10:11], -v[84:85]
	v_add_f64 v[203:204], v[16:17], v[10:11]
	s_delay_alu instid0(VALU_DEP_2) | instskip(SKIP_4) | instid1(VALU_DEP_4)
	v_add_f64 v[201:202], v[14:15], v[6:7]
	v_fma_f64 v[6:7], v[32:33], s[10:11], -v[231:232]
	v_fma_f64 v[10:11], v[24:25], s[8:9], -v[235:236]
	v_fma_f64 v[14:15], v[8:9], s[30:31], v[245:246]
	v_fma_f64 v[16:17], v[18:19], s[24:25], v[227:228]
	v_add_f64 v[2:3], v[6:7], v[2:3]
	v_fma_f64 v[6:7], v[34:35], s[18:19], v[233:234]
	s_delay_alu instid0(VALU_DEP_2) | instskip(NEXT) | instid1(VALU_DEP_2)
	v_add_f64 v[2:3], v[10:11], v[2:3]
	v_add_f64 v[6:7], v[6:7], v[40:41]
	v_fma_f64 v[10:11], v[26:27], s[22:23], v[237:238]
	s_delay_alu instid0(VALU_DEP_1) | instskip(SKIP_2) | instid1(VALU_DEP_2)
	v_add_f64 v[6:7], v[10:11], v[6:7]
	v_fma_f64 v[10:11], v[12:13], s[12:13], -v[239:240]
	v_fma_f64 v[12:13], v[12:13], s[10:11], v[225:226]
	v_add_f64 v[2:3], v[10:11], v[2:3]
	v_fma_f64 v[10:11], v[18:19], s[26:27], v[241:242]
	s_delay_alu instid0(VALU_DEP_1) | instskip(SKIP_2) | instid1(VALU_DEP_3)
	v_add_f64 v[6:7], v[10:11], v[6:7]
	v_fma_f64 v[10:11], v[4:5], s[16:17], -v[243:244]
	v_fma_f64 v[4:5], v[4:5], s[8:9], v[229:230]
	v_add_f64 v[207:208], v[14:15], v[6:7]
	s_delay_alu instid0(VALU_DEP_3) | instskip(SKIP_4) | instid1(VALU_DEP_4)
	v_add_f64 v[205:206], v[10:11], v[2:3]
	v_fma_f64 v[2:3], v[32:33], s[14:15], v[215:216]
	v_fma_f64 v[6:7], v[34:35], s[28:29], v[217:218]
	;; [unrolled: 1-line block ×4, first 2 shown]
	v_add_f64 v[2:3], v[2:3], v[42:43]
	s_delay_alu instid0(VALU_DEP_4) | instskip(NEXT) | instid1(VALU_DEP_2)
	v_add_f64 v[6:7], v[6:7], v[38:39]
	v_add_f64 v[2:3], v[10:11], v[2:3]
	s_delay_alu instid0(VALU_DEP_2) | instskip(NEXT) | instid1(VALU_DEP_2)
	v_add_f64 v[6:7], v[14:15], v[6:7]
	v_add_f64 v[2:3], v[12:13], v[2:3]
	s_delay_alu instid0(VALU_DEP_2) | instskip(NEXT) | instid1(VALU_DEP_2)
	v_add_f64 v[6:7], v[16:17], v[6:7]
	v_add_f64 v[223:224], v[4:5], v[2:3]
	s_delay_alu instid0(VALU_DEP_2)
	v_add_f64 v[225:226], v[0:1], v[6:7]
	ds_store_b128 v200, v[176:179] offset:32
	ds_store_b128 v200, v[180:183] offset:48
	;; [unrolled: 1-line block ×10, first 2 shown]
	ds_store_b128 v200, v[172:175]
	s_waitcnt lgkmcnt(0)
	s_barrier
	buffer_gl0_inv
	ds_load_b128 v[176:179], v214
	ds_load_b128 v[180:183], v214 offset:2464
	ds_load_b128 v[192:195], v214 offset:16016
	;; [unrolled: 1-line block ×9, first 2 shown]
	s_and_saveexec_b32 s1, vcc_lo
	s_cbranch_execz .LBB0_11
; %bb.10:
	ds_load_b128 v[168:171], v214 offset:12320
	ds_load_b128 v[164:167], v214 offset:25872
.LBB0_11:
	s_or_b32 exec_lo, exec_lo, s1
	s_waitcnt lgkmcnt(3)
	v_mul_f64 v[0:1], v[70:71], v[210:211]
	v_mul_f64 v[2:3], v[70:71], v[208:209]
	s_waitcnt lgkmcnt(1)
	v_mul_f64 v[12:13], v[66:67], v[206:207]
	v_mul_f64 v[14:15], v[66:67], v[204:205]
	s_waitcnt lgkmcnt(0)
	v_mul_f64 v[20:21], v[62:63], v[166:167]
	v_mul_f64 v[22:23], v[62:63], v[164:165]
	s_barrier
	buffer_gl0_inv
	v_mul_f64 v[4:5], v[74:75], v[194:195]
	v_mul_f64 v[6:7], v[74:75], v[192:193]
	;; [unrolled: 1-line block ×6, first 2 shown]
	v_fma_f64 v[0:1], v[68:69], v[208:209], v[0:1]
	v_fma_f64 v[2:3], v[68:69], v[210:211], -v[2:3]
	v_fma_f64 v[12:13], v[64:65], v[204:205], v[12:13]
	v_fma_f64 v[14:15], v[64:65], v[206:207], -v[14:15]
	;; [unrolled: 2-line block ×5, first 2 shown]
	v_add_f64 v[64:65], v[176:177], -v[0:1]
	v_fma_f64 v[0:1], v[60:61], v[164:165], v[20:21]
	v_add_f64 v[66:67], v[178:179], -v[2:3]
	v_fma_f64 v[2:3], v[60:61], v[166:167], -v[22:23]
	v_add_f64 v[76:77], v[184:185], -v[12:13]
	v_add_f64 v[78:79], v[186:187], -v[14:15]
	;; [unrolled: 1-line block ×8, first 2 shown]
	v_fma_f64 v[164:165], v[176:177], 2.0, -v[64:65]
	v_add_f64 v[60:61], v[168:169], -v[0:1]
	scratch_load_b32 v0, off, off offset:240 ; 4-byte Folded Reload
	v_fma_f64 v[166:167], v[178:179], 2.0, -v[66:67]
	v_fma_f64 v[184:185], v[184:185], 2.0, -v[76:77]
	;; [unrolled: 1-line block ×3, first 2 shown]
	v_add_f64 v[62:63], v[170:171], -v[2:3]
	s_waitcnt vmcnt(0)
	ds_store_b128 v0, v[164:167]
	ds_store_b128 v0, v[64:67] offset:176
	scratch_load_b32 v0, off, off offset:236 ; 4-byte Folded Reload
	v_fma_f64 v[176:177], v[180:181], 2.0, -v[68:69]
	v_fma_f64 v[178:179], v[182:183], 2.0, -v[70:71]
	;; [unrolled: 1-line block ×6, first 2 shown]
	s_waitcnt vmcnt(0)
	ds_store_b128 v0, v[176:179]
	ds_store_b128 v0, v[68:71] offset:176
	scratch_load_b32 v0, off, off offset:232 ; 4-byte Folded Reload
	s_waitcnt vmcnt(0)
	ds_store_b128 v0, v[180:183]
	ds_store_b128 v0, v[72:75] offset:176
	scratch_load_b32 v0, off, off offset:228 ; 4-byte Folded Reload
	;; [unrolled: 4-line block ×3, first 2 shown]
	s_waitcnt vmcnt(0)
	ds_store_b128 v0, v[172:175]
	ds_store_b128 v0, v[80:83] offset:176
	s_and_saveexec_b32 s1, vcc_lo
	s_cbranch_execz .LBB0_13
; %bb.12:
	s_clause 0x1
	scratch_load_b32 v0, off, off offset:216
	scratch_load_b32 v1, off, off offset:220
	v_fma_f64 v[66:67], v[170:171], 2.0, -v[62:63]
	v_fma_f64 v[64:65], v[168:169], 2.0, -v[60:61]
	s_waitcnt vmcnt(0)
	v_mad_u16 v0, v0, 22, v1
	s_delay_alu instid0(VALU_DEP_1) | instskip(NEXT) | instid1(VALU_DEP_1)
	v_and_b32_e32 v0, 0xffff, v0
	v_lshlrev_b32_e32 v0, 4, v0
	ds_store_b128 v0, v[64:67]
	ds_store_b128 v0, v[60:63] offset:176
.LBB0_13:
	s_or_b32 exec_lo, exec_lo, s1
	s_waitcnt lgkmcnt(0)
	s_barrier
	buffer_gl0_inv
	ds_load_b128 v[64:67], v214 offset:2464
	ds_load_b128 v[68:71], v214
	s_mov_b32 s22, 0xf8bb580b
	s_mov_b32 s23, 0xbfe14ced
	;; [unrolled: 1-line block ×12, first 2 shown]
	s_waitcnt lgkmcnt(1)
	v_mul_f64 v[0:1], v[46:47], v[66:67]
	v_mul_f64 v[2:3], v[46:47], v[64:65]
	s_delay_alu instid0(VALU_DEP_2) | instskip(NEXT) | instid1(VALU_DEP_2)
	v_fma_f64 v[0:1], v[44:45], v[64:65], v[0:1]
	v_fma_f64 v[2:3], v[44:45], v[66:67], -v[2:3]
	ds_load_b128 v[44:47], v214 offset:4928
	ds_load_b128 v[64:67], v214 offset:7392
	s_waitcnt lgkmcnt(1)
	v_mul_f64 v[4:5], v[54:55], v[44:45]
	v_mul_f64 v[6:7], v[54:55], v[46:47]
	s_waitcnt lgkmcnt(0)
	v_mul_f64 v[14:15], v[130:131], v[66:67]
	v_mul_f64 v[12:13], v[130:131], v[64:65]
	s_delay_alu instid0(VALU_DEP_4) | instskip(NEXT) | instid1(VALU_DEP_4)
	v_fma_f64 v[4:5], v[52:53], v[46:47], -v[4:5]
	v_fma_f64 v[6:7], v[52:53], v[44:45], v[6:7]
	ds_load_b128 v[44:47], v214 offset:24640
	v_fma_f64 v[14:15], v[128:129], v[64:65], v[14:15]
	v_fma_f64 v[12:13], v[128:129], v[66:67], -v[12:13]
	s_waitcnt lgkmcnt(0)
	v_mul_f64 v[8:9], v[50:51], v[44:45]
	v_mul_f64 v[10:11], v[50:51], v[46:47]
	s_delay_alu instid0(VALU_DEP_2) | instskip(NEXT) | instid1(VALU_DEP_2)
	v_fma_f64 v[8:9], v[48:49], v[46:47], -v[8:9]
	v_fma_f64 v[10:11], v[48:49], v[44:45], v[10:11]
	ds_load_b128 v[44:47], v214 offset:22176
	ds_load_b128 v[48:51], v214 offset:19712
	s_waitcnt lgkmcnt(1)
	v_mul_f64 v[16:17], v[58:59], v[44:45]
	v_mul_f64 v[18:19], v[58:59], v[46:47]
	s_waitcnt lgkmcnt(0)
	v_mul_f64 v[20:21], v[122:123], v[48:49]
	v_mul_f64 v[22:23], v[122:123], v[50:51]
	v_add_f64 v[40:41], v[2:3], -v[8:9]
	v_add_f64 v[78:79], v[0:1], -v[10:11]
	v_fma_f64 v[16:17], v[56:57], v[46:47], -v[16:17]
	v_fma_f64 v[18:19], v[56:57], v[44:45], v[18:19]
	v_fma_f64 v[20:21], v[120:121], v[50:51], -v[20:21]
	v_fma_f64 v[22:23], v[120:121], v[48:49], v[22:23]
	ds_load_b128 v[44:47], v214 offset:9856
	ds_load_b128 v[48:51], v214 offset:12320
	v_mul_f64 v[42:43], v[40:41], s[22:23]
	s_waitcnt lgkmcnt(1)
	v_mul_f64 v[24:25], v[106:107], v[46:47]
	v_mul_f64 v[26:27], v[106:107], v[44:45]
	s_waitcnt lgkmcnt(0)
	v_mul_f64 v[32:33], v[126:127], v[50:51]
	v_mul_f64 v[34:35], v[126:127], v[48:49]
	v_add_f64 v[120:121], v[6:7], -v[18:19]
	v_add_f64 v[128:129], v[12:13], v[20:21]
	v_add_f64 v[130:131], v[14:15], -v[22:23]
	v_fma_f64 v[24:25], v[104:105], v[44:45], v[24:25]
	v_fma_f64 v[26:27], v[104:105], v[46:47], -v[26:27]
	ds_load_b128 v[44:47], v214 offset:17248
	ds_load_b128 v[52:55], v214 offset:14784
	v_fma_f64 v[32:33], v[124:125], v[48:49], v[32:33]
	v_fma_f64 v[34:35], v[124:125], v[50:51], -v[34:35]
	v_mul_f64 v[48:49], v[40:41], s[18:19]
	v_add_f64 v[50:51], v[0:1], v[10:11]
	v_add_f64 v[124:125], v[14:15], v[22:23]
	;; [unrolled: 1-line block ×3, first 2 shown]
	s_waitcnt lgkmcnt(0)
	s_barrier
	buffer_gl0_inv
	v_mul_f64 v[156:157], v[128:129], s[14:15]
	v_mul_f64 v[186:187], v[128:129], s[8:9]
	;; [unrolled: 1-line block ×8, first 2 shown]
	v_add_f64 v[110:111], v[6:7], v[18:19]
	v_add_f64 v[118:119], v[4:5], v[16:17]
	v_fma_f64 v[58:59], v[50:51], s[10:11], v[48:49]
	v_fma_f64 v[48:49], v[50:51], s[10:11], -v[48:49]
	v_add_f64 v[0:1], v[0:1], v[6:7]
	v_fma_f64 v[28:29], v[108:109], v[44:45], v[28:29]
	v_fma_f64 v[30:31], v[108:109], v[46:47], -v[30:31]
	v_mul_f64 v[44:45], v[40:41], s[38:39]
	v_mul_f64 v[46:47], v[40:41], s[36:37]
	;; [unrolled: 1-line block ×3, first 2 shown]
	v_fma_f64 v[36:37], v[116:117], v[52:53], v[36:37]
	v_fma_f64 v[38:39], v[116:117], v[54:55], -v[38:39]
	v_fma_f64 v[52:53], v[50:51], s[16:17], v[42:43]
	v_fma_f64 v[42:43], v[50:51], s[16:17], -v[42:43]
	v_mul_f64 v[122:123], v[118:119], s[12:13]
	v_mul_f64 v[182:183], v[118:119], s[10:11]
	;; [unrolled: 1-line block ×4, first 2 shown]
	v_add_f64 v[58:59], v[68:69], v[58:59]
	v_add_f64 v[48:49], v[68:69], v[48:49]
	;; [unrolled: 1-line block ×4, first 2 shown]
	v_add_f64 v[158:159], v[26:27], -v[30:31]
	v_fma_f64 v[54:55], v[50:51], s[12:13], v[44:45]
	v_fma_f64 v[44:45], v[50:51], s[12:13], -v[44:45]
	v_fma_f64 v[56:57], v[50:51], s[14:15], v[46:47]
	v_fma_f64 v[46:47], v[50:51], s[14:15], -v[46:47]
	;; [unrolled: 2-line block ×3, first 2 shown]
	v_add_f64 v[50:51], v[2:3], v[8:9]
	v_add_f64 v[90:91], v[68:69], v[52:53]
	;; [unrolled: 1-line block ×4, first 2 shown]
	v_add_f64 v[166:167], v[24:25], -v[28:29]
	v_add_f64 v[170:171], v[34:35], -v[38:39]
	v_add_f64 v[172:173], v[32:33], v[36:37]
	v_add_f64 v[176:177], v[32:33], -v[36:37]
	v_add_f64 v[2:3], v[70:71], v[2:3]
	v_add_f64 v[0:1], v[0:1], v[24:25]
	v_mul_f64 v[162:163], v[158:159], s[18:19]
	v_add_f64 v[54:55], v[68:69], v[54:55]
	v_mul_f64 v[188:189], v[158:159], s[26:27]
	v_add_f64 v[56:57], v[68:69], v[56:57]
	v_add_f64 v[92:93], v[68:69], v[46:47]
	v_mul_f64 v[202:203], v[158:159], s[22:23]
	v_add_f64 v[40:41], v[68:69], v[40:41]
	v_mul_f64 v[76:77], v[50:51], s[10:11]
	v_mul_f64 v[66:67], v[50:51], s[16:17]
	;; [unrolled: 1-line block ×14, first 2 shown]
	v_add_f64 v[2:3], v[2:3], v[4:5]
	v_add_f64 v[0:1], v[0:1], v[32:33]
	v_fma_f64 v[84:85], v[78:79], s[24:25], v[76:77]
	v_fma_f64 v[76:77], v[78:79], s[18:19], v[76:77]
	;; [unrolled: 1-line block ×10, first 2 shown]
	v_add_f64 v[2:3], v[2:3], v[12:13]
	v_add_f64 v[0:1], v[0:1], v[36:37]
	;; [unrolled: 1-line block ×3, first 2 shown]
	v_add_f64 v[76:77], v[4:5], -v[16:17]
	v_add_f64 v[52:53], v[70:71], v[88:89]
	v_add_f64 v[88:89], v[68:69], v[44:45]
	;; [unrolled: 1-line block ×13, first 2 shown]
	v_mul_f64 v[116:117], v[76:77], s[38:39]
	v_mul_f64 v[180:181], v[76:77], s[18:19]
	;; [unrolled: 1-line block ×3, first 2 shown]
	v_add_f64 v[2:3], v[2:3], v[34:35]
	v_add_f64 v[0:1], v[0:1], v[22:23]
	v_fma_f64 v[44:45], v[110:111], s[12:13], -v[116:117]
	s_delay_alu instid0(VALU_DEP_3) | instskip(NEXT) | instid1(VALU_DEP_3)
	v_add_f64 v[2:3], v[2:3], v[38:39]
	v_add_f64 v[0:1], v[0:1], v[18:19]
	s_delay_alu instid0(VALU_DEP_3) | instskip(SKIP_1) | instid1(VALU_DEP_4)
	v_add_f64 v[42:43], v[44:45], v[42:43]
	v_fma_f64 v[44:45], v[120:121], s[38:39], v[122:123]
	v_add_f64 v[2:3], v[2:3], v[30:31]
	s_delay_alu instid0(VALU_DEP_2) | instskip(SKIP_1) | instid1(VALU_DEP_3)
	v_add_f64 v[44:45], v[44:45], v[52:53]
	v_add_f64 v[52:53], v[12:13], -v[20:21]
	v_add_f64 v[2:3], v[2:3], v[20:21]
	s_delay_alu instid0(VALU_DEP_2)
	v_mul_f64 v[126:127], v[52:53], s[36:37]
	v_mul_f64 v[184:185], v[52:53], s[20:21]
	;; [unrolled: 1-line block ×5, first 2 shown]
	v_add_f64 v[2:3], v[2:3], v[16:17]
	v_fma_f64 v[46:47], v[124:125], s[14:15], -v[126:127]
	v_fma_f64 v[66:67], v[124:125], s[8:9], v[184:185]
	v_fma_f64 v[70:71], v[124:125], s[12:13], v[198:199]
	;; [unrolled: 1-line block ×3, first 2 shown]
	s_delay_alu instid0(VALU_DEP_4) | instskip(SKIP_1) | instid1(VALU_DEP_1)
	v_add_f64 v[42:43], v[46:47], v[42:43]
	v_fma_f64 v[46:47], v[130:131], s[36:37], v[156:157]
	v_add_f64 v[44:45], v[46:47], v[44:45]
	v_fma_f64 v[46:47], v[160:161], s[10:11], -v[162:163]
	s_delay_alu instid0(VALU_DEP_1) | instskip(SKIP_1) | instid1(VALU_DEP_1)
	v_add_f64 v[42:43], v[46:47], v[42:43]
	v_fma_f64 v[46:47], v[166:167], s[18:19], v[168:169]
	v_add_f64 v[46:47], v[46:47], v[44:45]
	v_fma_f64 v[44:45], v[172:173], s[8:9], -v[174:175]
	s_delay_alu instid0(VALU_DEP_1) | instskip(SKIP_1) | instid1(VALU_DEP_1)
	v_add_f64 v[44:45], v[44:45], v[42:43]
	v_add_f64 v[42:43], v[34:35], v[38:39]
	v_mul_f64 v[178:179], v[42:43], s[8:9]
	v_mul_f64 v[194:195], v[42:43], s[16:17]
	s_delay_alu instid0(VALU_DEP_2) | instskip(NEXT) | instid1(VALU_DEP_1)
	v_fma_f64 v[64:65], v[176:177], s[34:35], v[178:179]
	v_add_f64 v[46:47], v[64:65], v[46:47]
	v_fma_f64 v[64:65], v[110:111], s[10:11], v[180:181]
	s_delay_alu instid0(VALU_DEP_1) | instskip(SKIP_1) | instid1(VALU_DEP_2)
	v_add_f64 v[54:55], v[64:65], v[54:55]
	v_fma_f64 v[64:65], v[120:121], s[24:25], v[182:183]
	v_add_f64 v[54:55], v[66:67], v[54:55]
	s_delay_alu instid0(VALU_DEP_2) | instskip(SKIP_1) | instid1(VALU_DEP_1)
	v_add_f64 v[64:65], v[64:65], v[78:79]
	v_fma_f64 v[66:67], v[130:131], s[34:35], v[186:187]
	v_add_f64 v[64:65], v[66:67], v[64:65]
	v_fma_f64 v[66:67], v[160:161], s[14:15], v[188:189]
	s_delay_alu instid0(VALU_DEP_1) | instskip(SKIP_1) | instid1(VALU_DEP_1)
	v_add_f64 v[54:55], v[66:67], v[54:55]
	v_fma_f64 v[66:67], v[166:167], s[36:37], v[190:191]
	v_add_f64 v[66:67], v[66:67], v[64:65]
	v_fma_f64 v[64:65], v[172:173], s[16:17], v[192:193]
	s_delay_alu instid0(VALU_DEP_1) | instskip(SKIP_1) | instid1(VALU_DEP_1)
	v_add_f64 v[64:65], v[64:65], v[54:55]
	v_fma_f64 v[54:55], v[176:177], s[22:23], v[194:195]
	v_add_f64 v[66:67], v[54:55], v[66:67]
	v_mul_f64 v[54:55], v[76:77], s[20:21]
	s_delay_alu instid0(VALU_DEP_1) | instskip(NEXT) | instid1(VALU_DEP_1)
	v_fma_f64 v[68:69], v[110:111], s[8:9], v[54:55]
	v_add_f64 v[56:57], v[68:69], v[56:57]
	v_fma_f64 v[68:69], v[120:121], s[34:35], v[196:197]
	s_delay_alu instid0(VALU_DEP_2) | instskip(NEXT) | instid1(VALU_DEP_2)
	v_add_f64 v[56:57], v[70:71], v[56:57]
	v_add_f64 v[68:69], v[68:69], v[80:81]
	v_fma_f64 v[70:71], v[130:131], s[38:39], v[200:201]
	v_mul_f64 v[80:81], v[76:77], s[30:31]
	s_delay_alu instid0(VALU_DEP_2) | instskip(SKIP_1) | instid1(VALU_DEP_3)
	v_add_f64 v[68:69], v[70:71], v[68:69]
	v_fma_f64 v[70:71], v[160:161], s[16:17], v[202:203]
	v_fma_f64 v[76:77], v[110:111], s[16:17], v[80:81]
	v_fma_f64 v[80:81], v[110:111], s[16:17], -v[80:81]
	s_delay_alu instid0(VALU_DEP_3) | instskip(SKIP_1) | instid1(VALU_DEP_4)
	v_add_f64 v[56:57], v[70:71], v[56:57]
	v_fma_f64 v[70:71], v[166:167], s[30:31], v[204:205]
	v_add_f64 v[76:77], v[76:77], v[84:85]
	v_fma_f64 v[84:85], v[124:125], s[10:11], v[52:53]
	v_add_f64 v[40:41], v[80:81], v[40:41]
	v_fma_f64 v[52:53], v[124:125], s[10:11], -v[52:53]
	v_add_f64 v[70:71], v[70:71], v[68:69]
	v_fma_f64 v[68:69], v[172:173], s[10:11], v[206:207]
	v_add_f64 v[76:77], v[84:85], v[76:77]
	v_mul_f64 v[84:85], v[128:129], s[10:11]
	v_add_f64 v[40:41], v[52:53], v[40:41]
	s_delay_alu instid0(VALU_DEP_4) | instskip(SKIP_1) | instid1(VALU_DEP_4)
	v_add_f64 v[68:69], v[68:69], v[56:57]
	v_mul_f64 v[56:57], v[42:43], s[10:11]
	v_fma_f64 v[52:53], v[130:131], s[18:19], v[84:85]
	s_delay_alu instid0(VALU_DEP_2) | instskip(NEXT) | instid1(VALU_DEP_1)
	v_fma_f64 v[72:73], v[176:177], s[24:25], v[56:57]
	v_add_f64 v[70:71], v[72:73], v[70:71]
	v_fma_f64 v[72:73], v[110:111], s[14:15], v[208:209]
	s_delay_alu instid0(VALU_DEP_1) | instskip(SKIP_1) | instid1(VALU_DEP_2)
	v_add_f64 v[58:59], v[72:73], v[58:59]
	v_fma_f64 v[72:73], v[120:121], s[36:37], v[210:211]
	v_add_f64 v[58:59], v[74:75], v[58:59]
	s_delay_alu instid0(VALU_DEP_2) | instskip(SKIP_2) | instid1(VALU_DEP_2)
	v_add_f64 v[72:73], v[72:73], v[82:83]
	v_fma_f64 v[74:75], v[130:131], s[30:31], v[217:218]
	v_mul_f64 v[82:83], v[118:119], s[16:17]
	v_add_f64 v[72:73], v[74:75], v[72:73]
	v_fma_f64 v[74:75], v[160:161], s[8:9], v[219:220]
	s_delay_alu instid0(VALU_DEP_3) | instskip(NEXT) | instid1(VALU_DEP_2)
	v_fma_f64 v[80:81], v[120:121], s[30:31], v[82:83]
	v_add_f64 v[58:59], v[74:75], v[58:59]
	v_fma_f64 v[74:75], v[166:167], s[20:21], v[223:224]
	s_delay_alu instid0(VALU_DEP_3) | instskip(NEXT) | instid1(VALU_DEP_2)
	v_add_f64 v[50:51], v[80:81], v[50:51]
	v_add_f64 v[74:75], v[74:75], v[72:73]
	v_fma_f64 v[72:73], v[172:173], s[12:13], v[225:226]
	s_delay_alu instid0(VALU_DEP_3) | instskip(NEXT) | instid1(VALU_DEP_2)
	v_add_f64 v[50:51], v[52:53], v[50:51]
	v_add_f64 v[72:73], v[72:73], v[58:59]
	v_mul_f64 v[58:59], v[42:43], s[12:13]
	v_mul_f64 v[42:43], v[42:43], s[14:15]
	s_delay_alu instid0(VALU_DEP_2) | instskip(NEXT) | instid1(VALU_DEP_1)
	v_fma_f64 v[78:79], v[176:177], s[38:39], v[58:59]
	v_add_f64 v[74:75], v[78:79], v[74:75]
	v_fma_f64 v[78:79], v[120:121], s[22:23], v[82:83]
	s_delay_alu instid0(VALU_DEP_1) | instskip(SKIP_2) | instid1(VALU_DEP_2)
	v_add_f64 v[78:79], v[78:79], v[86:87]
	v_fma_f64 v[86:87], v[130:131], s[24:25], v[84:85]
	v_fma_f64 v[84:85], v[124:125], s[14:15], v[126:127]
	v_add_f64 v[78:79], v[86:87], v[78:79]
	v_mul_f64 v[86:87], v[158:159], s[28:29]
	s_delay_alu instid0(VALU_DEP_1) | instskip(SKIP_2) | instid1(VALU_DEP_3)
	v_fma_f64 v[118:119], v[160:161], s[12:13], v[86:87]
	v_fma_f64 v[52:53], v[160:161], s[12:13], -v[86:87]
	v_fma_f64 v[86:87], v[130:131], s[26:27], v[156:157]
	v_add_f64 v[76:77], v[118:119], v[76:77]
	v_mul_f64 v[118:119], v[164:165], s[12:13]
	s_delay_alu instid0(VALU_DEP_4) | instskip(NEXT) | instid1(VALU_DEP_2)
	v_add_f64 v[40:41], v[52:53], v[40:41]
	v_fma_f64 v[128:129], v[166:167], s[38:39], v[118:119]
	v_fma_f64 v[52:53], v[166:167], s[28:29], v[118:119]
	s_delay_alu instid0(VALU_DEP_2) | instskip(SKIP_1) | instid1(VALU_DEP_3)
	v_add_f64 v[78:79], v[128:129], v[78:79]
	v_mul_f64 v[128:129], v[170:171], s[36:37]
	v_add_f64 v[50:51], v[52:53], v[50:51]
	s_delay_alu instid0(VALU_DEP_2) | instskip(SKIP_1) | instid1(VALU_DEP_2)
	v_fma_f64 v[158:159], v[172:173], s[14:15], v[128:129]
	v_fma_f64 v[52:53], v[172:173], s[14:15], -v[128:129]
	v_add_f64 v[76:77], v[158:159], v[76:77]
	v_fma_f64 v[158:159], v[176:177], s[26:27], v[42:43]
	v_fma_f64 v[42:43], v[176:177], s[36:37], v[42:43]
	s_delay_alu instid0(VALU_DEP_4)
	v_add_f64 v[80:81], v[52:53], v[40:41]
	v_fma_f64 v[40:41], v[110:111], s[14:15], -v[208:209]
	v_fma_f64 v[52:53], v[124:125], s[12:13], -v[198:199]
	v_add_f64 v[78:79], v[158:159], v[78:79]
	v_add_f64 v[82:83], v[42:43], v[50:51]
	v_fma_f64 v[42:43], v[120:121], s[26:27], v[210:211]
	v_add_f64 v[40:41], v[40:41], v[48:49]
	v_fma_f64 v[48:49], v[124:125], s[16:17], -v[215:216]
	v_fma_f64 v[50:51], v[176:177], s[28:29], v[58:59]
	v_fma_f64 v[58:59], v[176:177], s[30:31], v[194:195]
	v_add_f64 v[42:43], v[42:43], v[94:95]
	s_delay_alu instid0(VALU_DEP_4) | instskip(SKIP_1) | instid1(VALU_DEP_1)
	v_add_f64 v[40:41], v[48:49], v[40:41]
	v_fma_f64 v[48:49], v[130:131], s[22:23], v[217:218]
	v_add_f64 v[42:43], v[48:49], v[42:43]
	v_fma_f64 v[48:49], v[160:161], s[8:9], -v[219:220]
	s_delay_alu instid0(VALU_DEP_1) | instskip(SKIP_1) | instid1(VALU_DEP_1)
	v_add_f64 v[40:41], v[48:49], v[40:41]
	v_fma_f64 v[48:49], v[166:167], s[34:35], v[223:224]
	v_add_f64 v[42:43], v[48:49], v[42:43]
	v_fma_f64 v[48:49], v[172:173], s[12:13], -v[225:226]
	s_delay_alu instid0(VALU_DEP_2) | instskip(NEXT) | instid1(VALU_DEP_2)
	v_add_f64 v[50:51], v[50:51], v[42:43]
	v_add_f64 v[48:49], v[48:49], v[40:41]
	v_fma_f64 v[40:41], v[110:111], s[8:9], -v[54:55]
	v_fma_f64 v[42:43], v[120:121], s[20:21], v[196:197]
	v_fma_f64 v[54:55], v[176:177], s[18:19], v[56:57]
	v_fma_f64 v[56:57], v[124:125], s[8:9], -v[184:185]
	s_delay_alu instid0(VALU_DEP_4) | instskip(NEXT) | instid1(VALU_DEP_4)
	v_add_f64 v[40:41], v[40:41], v[92:93]
	v_add_f64 v[42:43], v[42:43], v[104:105]
	s_delay_alu instid0(VALU_DEP_2) | instskip(SKIP_1) | instid1(VALU_DEP_1)
	v_add_f64 v[40:41], v[52:53], v[40:41]
	v_fma_f64 v[52:53], v[130:131], s[28:29], v[200:201]
	v_add_f64 v[42:43], v[52:53], v[42:43]
	v_fma_f64 v[52:53], v[160:161], s[16:17], -v[202:203]
	s_delay_alu instid0(VALU_DEP_1) | instskip(SKIP_1) | instid1(VALU_DEP_1)
	v_add_f64 v[40:41], v[52:53], v[40:41]
	v_fma_f64 v[52:53], v[166:167], s[22:23], v[204:205]
	v_add_f64 v[42:43], v[52:53], v[42:43]
	v_fma_f64 v[52:53], v[172:173], s[10:11], -v[206:207]
	s_delay_alu instid0(VALU_DEP_2) | instskip(NEXT) | instid1(VALU_DEP_2)
	v_add_f64 v[54:55], v[54:55], v[42:43]
	v_add_f64 v[52:53], v[52:53], v[40:41]
	v_fma_f64 v[40:41], v[110:111], s[10:11], -v[180:181]
	v_fma_f64 v[42:43], v[120:121], s[18:19], v[182:183]
	s_delay_alu instid0(VALU_DEP_2) | instskip(NEXT) | instid1(VALU_DEP_2)
	v_add_f64 v[40:41], v[40:41], v[88:89]
	v_add_f64 v[42:43], v[42:43], v[106:107]
	v_fma_f64 v[88:89], v[160:161], s[10:11], v[162:163]
	s_delay_alu instid0(VALU_DEP_3) | instskip(SKIP_1) | instid1(VALU_DEP_1)
	v_add_f64 v[40:41], v[56:57], v[40:41]
	v_fma_f64 v[56:57], v[130:131], s[20:21], v[186:187]
	v_add_f64 v[42:43], v[56:57], v[42:43]
	v_fma_f64 v[56:57], v[160:161], s[14:15], -v[188:189]
	s_delay_alu instid0(VALU_DEP_1) | instskip(SKIP_1) | instid1(VALU_DEP_1)
	v_add_f64 v[40:41], v[56:57], v[40:41]
	v_fma_f64 v[56:57], v[166:167], s[26:27], v[190:191]
	v_add_f64 v[42:43], v[56:57], v[42:43]
	v_fma_f64 v[56:57], v[172:173], s[16:17], -v[192:193]
	s_delay_alu instid0(VALU_DEP_2) | instskip(NEXT) | instid1(VALU_DEP_2)
	v_add_f64 v[58:59], v[58:59], v[42:43]
	v_add_f64 v[56:57], v[56:57], v[40:41]
	v_fma_f64 v[40:41], v[110:111], s[12:13], v[116:117]
	v_fma_f64 v[42:43], v[120:121], s[28:29], v[122:123]
	v_add_f64 v[110:111], v[2:3], v[8:9]
	s_delay_alu instid0(VALU_DEP_3) | instskip(NEXT) | instid1(VALU_DEP_3)
	v_add_f64 v[40:41], v[40:41], v[90:91]
	v_add_f64 v[42:43], v[42:43], v[108:109]
	v_fma_f64 v[90:91], v[166:167], s[24:25], v[168:169]
	v_add_f64 v[108:109], v[0:1], v[10:11]
	s_delay_alu instid0(VALU_DEP_4) | instskip(NEXT) | instid1(VALU_DEP_4)
	v_add_f64 v[40:41], v[84:85], v[40:41]
	v_add_f64 v[42:43], v[86:87], v[42:43]
	v_fma_f64 v[84:85], v[172:173], s[8:9], v[174:175]
	v_fma_f64 v[86:87], v[176:177], s[20:21], v[178:179]
	s_delay_alu instid0(VALU_DEP_4) | instskip(NEXT) | instid1(VALU_DEP_4)
	v_add_f64 v[40:41], v[88:89], v[40:41]
	v_add_f64 v[42:43], v[90:91], v[42:43]
	s_delay_alu instid0(VALU_DEP_2) | instskip(NEXT) | instid1(VALU_DEP_2)
	v_add_f64 v[104:105], v[84:85], v[40:41]
	v_add_f64 v[106:107], v[86:87], v[42:43]
	ds_store_b128 v222, v[64:67] offset:704
	ds_store_b128 v222, v[68:71] offset:1056
	;; [unrolled: 1-line block ×10, first 2 shown]
	ds_store_b128 v222, v[108:111]
	s_waitcnt lgkmcnt(0)
	s_barrier
	buffer_gl0_inv
	ds_load_b128 v[64:67], v214
	ds_load_b128 v[104:107], v214 offset:3872
	ds_load_b128 v[80:83], v214 offset:7744
	;; [unrolled: 1-line block ×6, first 2 shown]
	s_and_saveexec_b32 s1, s0
	s_cbranch_execz .LBB0_15
; %bb.14:
	ds_load_b128 v[48:51], v214 offset:2464
	ds_load_b128 v[52:55], v214 offset:6336
	;; [unrolled: 1-line block ×6, first 2 shown]
	s_waitcnt lgkmcnt(0)
	scratch_store_b128 off, v[0:3], off     ; 16-byte Folded Spill
	ds_load_b128 v[0:3], v214 offset:25696
	s_waitcnt lgkmcnt(0)
	scratch_store_b128 off, v[0:3], off offset:16 ; 16-byte Folded Spill
.LBB0_15:
	s_or_b32 exec_lo, exec_lo, s1
	s_waitcnt lgkmcnt(5)
	v_mul_f64 v[0:1], v[134:135], v[106:107]
	v_mul_f64 v[2:3], v[134:135], v[104:105]
	s_waitcnt lgkmcnt(4)
	v_mul_f64 v[4:5], v[138:139], v[82:83]
	v_mul_f64 v[6:7], v[138:139], v[80:81]
	;; [unrolled: 3-line block ×3, first 2 shown]
	v_mul_f64 v[12:13], v[146:147], v[78:79]
	v_mul_f64 v[14:15], v[146:147], v[76:77]
	;; [unrolled: 1-line block ×6, first 2 shown]
	s_mov_b32 s10, 0x37e14327
	s_mov_b32 s14, 0xe976ee23
	;; [unrolled: 1-line block ×20, first 2 shown]
	v_fma_f64 v[0:1], v[132:133], v[104:105], v[0:1]
	v_fma_f64 v[2:3], v[132:133], v[106:107], -v[2:3]
	v_fma_f64 v[4:5], v[136:137], v[80:81], v[4:5]
	v_fma_f64 v[6:7], v[136:137], v[82:83], -v[6:7]
	v_fma_f64 v[8:9], v[140:141], v[108:109], v[8:9]
	v_fma_f64 v[10:11], v[140:141], v[110:111], -v[10:11]
	v_fma_f64 v[12:13], v[144:145], v[76:77], v[12:13]
	v_fma_f64 v[14:15], v[144:145], v[78:79], -v[14:15]
	v_fma_f64 v[16:17], v[148:149], v[72:73], v[16:17]
	v_fma_f64 v[18:19], v[148:149], v[74:75], -v[18:19]
	v_fma_f64 v[20:21], v[152:153], v[68:69], v[20:21]
	v_fma_f64 v[22:23], v[152:153], v[70:71], -v[22:23]
	v_add_f64 v[24:25], v[0:1], v[8:9]
	v_add_f64 v[26:27], v[2:3], v[10:11]
	;; [unrolled: 1-line block ×4, first 2 shown]
	v_add_f64 v[4:5], v[4:5], -v[12:13]
	v_add_f64 v[6:7], v[6:7], -v[14:15]
	v_add_f64 v[12:13], v[16:17], v[20:21]
	v_add_f64 v[14:15], v[18:19], v[22:23]
	v_add_f64 v[16:17], v[20:21], -v[16:17]
	v_add_f64 v[18:19], v[22:23], -v[18:19]
	;; [unrolled: 1-line block ×4, first 2 shown]
	v_add_f64 v[8:9], v[28:29], v[24:25]
	v_add_f64 v[10:11], v[30:31], v[26:27]
	v_add_f64 v[20:21], v[24:25], -v[12:13]
	v_add_f64 v[22:23], v[26:27], -v[14:15]
	v_add_f64 v[32:33], v[16:17], -v[4:5]
	v_add_f64 v[34:35], v[18:19], -v[6:7]
	v_add_f64 v[36:37], v[4:5], -v[0:1]
	v_add_f64 v[38:39], v[6:7], -v[2:3]
	v_add_f64 v[4:5], v[16:17], v[4:5]
	v_add_f64 v[6:7], v[18:19], v[6:7]
	v_add_f64 v[16:17], v[0:1], -v[16:17]
	v_add_f64 v[18:19], v[2:3], -v[18:19]
	;; [unrolled: 1-line block ×4, first 2 shown]
	v_add_f64 v[8:9], v[12:13], v[8:9]
	v_add_f64 v[10:11], v[14:15], v[10:11]
	v_add_f64 v[12:13], v[12:13], -v[28:29]
	v_add_f64 v[14:15], v[14:15], -v[30:31]
	v_mul_f64 v[20:21], v[20:21], s[10:11]
	v_mul_f64 v[22:23], v[22:23], s[10:11]
	;; [unrolled: 1-line block ×6, first 2 shown]
	v_add_f64 v[0:1], v[4:5], v[0:1]
	v_add_f64 v[2:3], v[6:7], v[2:3]
	;; [unrolled: 1-line block ×4, first 2 shown]
	v_mul_f64 v[28:29], v[12:13], s[18:19]
	v_mul_f64 v[30:31], v[14:15], s[18:19]
	v_fma_f64 v[4:5], v[12:13], s[18:19], v[20:21]
	v_fma_f64 v[6:7], v[14:15], s[18:19], v[22:23]
	;; [unrolled: 1-line block ×4, first 2 shown]
	v_fma_f64 v[32:33], v[36:37], s[8:9], -v[32:33]
	v_fma_f64 v[34:35], v[38:39], s[8:9], -v[34:35]
	;; [unrolled: 1-line block ×6, first 2 shown]
	v_fma_f64 v[8:9], v[8:9], s[12:13], v[64:65]
	v_fma_f64 v[10:11], v[10:11], s[12:13], v[66:67]
	v_fma_f64 v[24:25], v[24:25], s[16:17], -v[28:29]
	v_fma_f64 v[26:27], v[26:27], s[16:17], -v[30:31]
	v_fma_f64 v[12:13], v[0:1], s[26:27], v[12:13]
	v_fma_f64 v[14:15], v[2:3], s[26:27], v[14:15]
	;; [unrolled: 1-line block ×6, first 2 shown]
	v_add_f64 v[4:5], v[4:5], v[8:9]
	v_add_f64 v[6:7], v[6:7], v[10:11]
	;; [unrolled: 1-line block ×7, first 2 shown]
	v_add_f64 v[70:71], v[6:7], -v[12:13]
	v_add_f64 v[72:73], v[2:3], v[16:17]
	v_add_f64 v[74:75], v[18:19], -v[0:1]
	v_add_f64 v[76:77], v[8:9], -v[30:31]
	v_add_f64 v[78:79], v[28:29], v[10:11]
	v_add_f64 v[80:81], v[30:31], v[8:9]
	v_add_f64 v[82:83], v[10:11], -v[28:29]
	v_add_f64 v[104:105], v[16:17], -v[2:3]
	v_add_f64 v[106:107], v[0:1], v[18:19]
	v_add_f64 v[108:109], v[4:5], -v[14:15]
	v_add_f64 v[110:111], v[12:13], v[6:7]
	ds_store_b128 v214, v[64:67]
	ds_store_b128 v214, v[68:71] offset:3872
	ds_store_b128 v214, v[72:75] offset:7744
	;; [unrolled: 1-line block ×6, first 2 shown]
	s_and_saveexec_b32 s1, s0
	s_cbranch_execz .LBB0_17
; %bb.16:
	s_clause 0x4
	scratch_load_b128 v[32:35], off, off offset:276
	scratch_load_b128 v[40:43], off, off offset:16
	;; [unrolled: 1-line block ×3, first 2 shown]
	scratch_load_b128 v[36:39], off, off
	scratch_load_b128 v[28:31], off, off offset:260
	v_mul_f64 v[16:17], v[114:115], v[62:63]
	v_mul_f64 v[18:19], v[102:103], v[46:47]
	;; [unrolled: 1-line block ×4, first 2 shown]
	s_delay_alu instid0(VALU_DEP_4) | instskip(NEXT) | instid1(VALU_DEP_4)
	v_fma_f64 v[16:17], v[112:113], v[60:61], v[16:17]
	v_fma_f64 v[18:19], v[100:101], v[44:45], v[18:19]
	s_delay_alu instid0(VALU_DEP_4) | instskip(NEXT) | instid1(VALU_DEP_4)
	v_fma_f64 v[20:21], v[100:101], v[46:47], -v[20:21]
	v_fma_f64 v[22:23], v[112:113], v[62:63], -v[22:23]
	s_waitcnt vmcnt(3)
	v_mul_f64 v[0:1], v[34:35], v[40:41]
	s_waitcnt vmcnt(2)
	v_mul_f64 v[2:3], v[26:27], v[52:53]
	;; [unrolled: 2-line block ×4, first 2 shown]
	v_mul_f64 v[8:9], v[26:27], v[54:55]
	v_mul_f64 v[10:11], v[34:35], v[42:43]
	;; [unrolled: 1-line block ×4, first 2 shown]
	v_fma_f64 v[0:1], v[32:33], v[42:43], -v[0:1]
	v_fma_f64 v[2:3], v[24:25], v[54:55], -v[2:3]
	;; [unrolled: 1-line block ×4, first 2 shown]
	v_fma_f64 v[8:9], v[24:25], v[52:53], v[8:9]
	v_fma_f64 v[10:11], v[32:33], v[40:41], v[10:11]
	;; [unrolled: 1-line block ×4, first 2 shown]
	v_add_f64 v[32:33], v[16:17], -v[18:19]
	v_add_f64 v[16:17], v[18:19], v[16:17]
	v_add_f64 v[18:19], v[22:23], -v[20:21]
	v_add_f64 v[24:25], v[2:3], v[0:1]
	v_add_f64 v[0:1], v[2:3], -v[0:1]
	v_add_f64 v[26:27], v[6:7], v[4:5]
	v_add_f64 v[4:5], v[6:7], -v[4:5]
	v_add_f64 v[28:29], v[8:9], v[10:11]
	v_add_f64 v[8:9], v[8:9], -v[10:11]
	v_add_f64 v[30:31], v[12:13], v[14:15]
	v_add_f64 v[12:13], v[12:13], -v[14:15]
	v_add_f64 v[14:15], v[20:21], v[22:23]
	v_add_f64 v[10:11], v[26:27], v[24:25]
	v_add_f64 v[36:37], v[18:19], -v[4:5]
	v_add_f64 v[22:23], v[28:29], -v[16:17]
	;; [unrolled: 1-line block ×3, first 2 shown]
	v_add_f64 v[2:3], v[30:31], v[28:29]
	v_add_f64 v[6:7], v[32:33], -v[12:13]
	v_add_f64 v[20:21], v[24:25], -v[14:15]
	;; [unrolled: 1-line block ×4, first 2 shown]
	v_add_f64 v[12:13], v[32:33], v[12:13]
	v_add_f64 v[4:5], v[18:19], v[4:5]
	v_add_f64 v[18:19], v[0:1], -v[18:19]
	v_add_f64 v[24:25], v[26:27], -v[24:25]
	;; [unrolled: 1-line block ×3, first 2 shown]
	v_add_f64 v[10:11], v[14:15], v[10:11]
	v_add_f64 v[14:15], v[14:15], -v[26:27]
	v_mul_f64 v[22:23], v[22:23], s[10:11]
	v_mul_f64 v[36:37], v[36:37], s[14:15]
	v_add_f64 v[2:3], v[16:17], v[2:3]
	v_add_f64 v[16:17], v[16:17], -v[30:31]
	v_mul_f64 v[6:7], v[6:7], s[14:15]
	v_mul_f64 v[20:21], v[20:21], s[10:11]
	v_mul_f64 v[32:33], v[34:35], s[8:9]
	v_mul_f64 v[42:43], v[38:39], s[8:9]
	v_add_f64 v[8:9], v[12:13], v[8:9]
	v_add_f64 v[0:1], v[4:5], v[0:1]
	v_add_f64 v[46:47], v[50:51], v[10:11]
	v_mul_f64 v[26:27], v[14:15], s[18:19]
	v_add_f64 v[44:45], v[48:49], v[2:3]
	v_mul_f64 v[30:31], v[16:17], s[18:19]
	v_fma_f64 v[4:5], v[40:41], s[22:23], v[6:7]
	v_fma_f64 v[12:13], v[14:15], s[18:19], v[20:21]
	;; [unrolled: 1-line block ×3, first 2 shown]
	v_fma_f64 v[16:17], v[40:41], s[24:25], -v[32:33]
	v_fma_f64 v[6:7], v[34:35], s[8:9], -v[6:7]
	;; [unrolled: 1-line block ×5, first 2 shown]
	v_fma_f64 v[10:11], v[10:11], s[12:13], v[46:47]
	v_fma_f64 v[24:25], v[24:25], s[16:17], -v[26:27]
	v_fma_f64 v[26:27], v[18:19], s[22:23], v[36:37]
	v_fma_f64 v[18:19], v[18:19], s[24:25], -v[42:43]
	;; [unrolled: 2-line block ×3, first 2 shown]
	v_fma_f64 v[4:5], v[8:9], s[26:27], v[4:5]
	v_fma_f64 v[16:17], v[8:9], s[26:27], v[16:17]
	;; [unrolled: 1-line block ×3, first 2 shown]
	v_add_f64 v[8:9], v[12:13], v[10:11]
	v_add_f64 v[12:13], v[20:21], v[10:11]
	v_fma_f64 v[20:21], v[0:1], s[26:27], v[26:27]
	v_fma_f64 v[18:19], v[0:1], s[26:27], v[18:19]
	v_add_f64 v[14:15], v[14:15], v[2:3]
	v_add_f64 v[22:23], v[22:23], v[2:3]
	;; [unrolled: 1-line block ×3, first 2 shown]
	v_fma_f64 v[0:1], v[0:1], s[26:27], v[32:33]
	v_add_f64 v[2:3], v[28:29], v[2:3]
	v_add_f64 v[70:71], v[8:9], -v[4:5]
	v_add_f64 v[66:67], v[12:13], -v[16:17]
	v_add_f64 v[54:55], v[16:17], v[12:13]
	v_add_f64 v[50:51], v[4:5], v[8:9]
	;; [unrolled: 1-line block ×5, first 2 shown]
	v_add_f64 v[58:59], v[10:11], -v[6:7]
	v_add_f64 v[60:61], v[2:3], -v[0:1]
	v_add_f64 v[56:57], v[0:1], v[2:3]
	v_add_f64 v[52:53], v[22:23], -v[18:19]
	v_add_f64 v[48:49], v[14:15], -v[20:21]
	ds_store_b128 v214, v[44:47] offset:2464
	ds_store_b128 v214, v[68:71] offset:6336
	;; [unrolled: 1-line block ×7, first 2 shown]
.LBB0_17:
	s_or_b32 exec_lo, exec_lo, s1
	s_waitcnt lgkmcnt(0)
	s_waitcnt_vscnt null, 0x0
	s_barrier
	buffer_gl0_inv
	ds_load_b128 v[44:47], v214
	ds_load_b128 v[48:51], v214 offset:2464
	ds_load_b128 v[52:55], v214 offset:4928
	;; [unrolled: 1-line block ×3, first 2 shown]
	scratch_load_b64 v[0:1], off, off offset:32 ; 8-byte Folded Reload
	ds_load_b128 v[60:63], v214 offset:9856
	ds_load_b128 v[64:67], v214 offset:12320
	scratch_load_b128 v[95:98], off, off offset:40 ; 16-byte Folded Reload
	v_mad_u64_u32 v[14:15], null, s4, v213, 0
	s_mov_b32 s0, 0xe9078e5b
	s_mov_b32 s1, 0x3f4357f3
	s_waitcnt vmcnt(1)
	v_mov_b32_e32 v94, v0
	s_waitcnt vmcnt(0) lgkmcnt(5)
	v_mul_f64 v[2:3], v[97:98], v[46:47]
	v_mul_f64 v[4:5], v[97:98], v[44:45]
	scratch_load_b128 v[97:100], off, off offset:56 ; 16-byte Folded Reload
	ds_load_b128 v[68:71], v214 offset:14784
	ds_load_b128 v[72:75], v214 offset:17248
	;; [unrolled: 1-line block ×4, first 2 shown]
	scratch_load_b128 v[103:106], off, off offset:88 ; 16-byte Folded Reload
	ds_load_b128 v[84:87], v214 offset:24640
	v_mad_u64_u32 v[0:1], null, s6, v94, 0
	s_mul_hi_u32 s6, s4, 0x9a0
	s_mulk_i32 s4, 0x9a0
	scratch_load_b128 v[113:116], off, off offset:152 ; 16-byte Folded Reload
	v_mad_u64_u32 v[92:93], null, s7, v94, v[1:2]
	v_fma_f64 v[2:3], v[95:96], v[44:45], v[2:3]
	v_fma_f64 v[4:5], v[95:96], v[46:47], -v[4:5]
	s_delay_alu instid0(VALU_DEP_3) | instskip(NEXT) | instid1(VALU_DEP_1)
	v_mov_b32_e32 v1, v92
	v_lshlrev_b64 v[0:1], 4, v[0:1]
	s_delay_alu instid0(VALU_DEP_1) | instskip(NEXT) | instid1(VALU_DEP_2)
	v_add_co_u32 v0, vcc_lo, s2, v0
	v_add_co_ci_u32_e32 v1, vcc_lo, s3, v1, vcc_lo
	s_waitcnt vmcnt(2) lgkmcnt(9)
	v_mul_f64 v[6:7], v[99:100], v[50:51]
	v_mul_f64 v[8:9], v[99:100], v[48:49]
	scratch_load_b128 v[99:102], off, off offset:72 ; 16-byte Folded Reload
	s_waitcnt vmcnt(2) lgkmcnt(8)
	v_mul_f64 v[10:11], v[105:106], v[54:55]
	v_mul_f64 v[12:13], v[105:106], v[52:53]
	scratch_load_b128 v[105:108], off, off offset:104 ; 16-byte Folded Reload
	;; [unrolled: 4-line block ×3, first 2 shown]
	v_fma_f64 v[6:7], v[97:98], v[48:49], v[6:7]
	v_fma_f64 v[8:9], v[97:98], v[50:51], -v[8:9]
	v_fma_f64 v[10:11], v[103:104], v[52:53], v[10:11]
	v_fma_f64 v[12:13], v[103:104], v[54:55], -v[12:13]
	;; [unrolled: 2-line block ×3, first 2 shown]
	s_waitcnt vmcnt(2)
	v_mul_f64 v[16:17], v[101:102], v[58:59]
	v_mul_f64 v[18:19], v[101:102], v[56:57]
	s_waitcnt vmcnt(1)
	v_mul_f64 v[20:21], v[107:108], v[62:63]
	v_mul_f64 v[22:23], v[107:108], v[60:61]
	scratch_load_b128 v[107:110], off, off offset:120 ; 16-byte Folded Reload
	s_waitcnt vmcnt(1) lgkmcnt(3)
	v_mul_f64 v[32:33], v[117:118], v[74:75]
	v_mul_f64 v[34:35], v[117:118], v[72:73]
	scratch_load_b128 v[117:120], off, off offset:184 ; 16-byte Folded Reload
	v_mad_u64_u32 v[93:94], null, s5, v213, v[15:16]
	v_fma_f64 v[16:17], v[99:100], v[56:57], v[16:17]
	v_fma_f64 v[18:19], v[99:100], v[58:59], -v[18:19]
	v_fma_f64 v[20:21], v[105:106], v[60:61], v[20:21]
	v_fma_f64 v[22:23], v[105:106], v[62:63], -v[22:23]
	s_mulk_i32 s5, 0x9a0
	v_mov_b32_e32 v15, v93
	s_add_i32 s6, s6, s5
	v_fma_f64 v[32:33], v[115:116], v[72:73], v[32:33]
	v_fma_f64 v[34:35], v[115:116], v[74:75], -v[34:35]
	s_delay_alu instid0(VALU_DEP_3) | instskip(NEXT) | instid1(VALU_DEP_1)
	v_lshlrev_b64 v[14:15], 4, v[14:15]
	v_add_co_u32 v48, vcc_lo, v0, v14
	s_delay_alu instid0(VALU_DEP_2)
	v_add_co_ci_u32_e32 v49, vcc_lo, v1, v15, vcc_lo
	v_mul_f64 v[0:1], v[2:3], s[0:1]
	v_mul_f64 v[2:3], v[4:5], s[0:1]
	;; [unrolled: 1-line block ×4, first 2 shown]
	v_add_co_u32 v50, vcc_lo, v48, s4
	v_add_co_ci_u32_e32 v51, vcc_lo, s6, v49, vcc_lo
	v_mul_f64 v[8:9], v[10:11], s[0:1]
	s_delay_alu instid0(VALU_DEP_3) | instskip(SKIP_1) | instid1(VALU_DEP_4)
	v_add_co_u32 v52, vcc_lo, v50, s4
	v_mul_f64 v[10:11], v[12:13], s[0:1]
	v_add_co_ci_u32_e32 v53, vcc_lo, s6, v51, vcc_lo
	s_delay_alu instid0(VALU_DEP_3)
	v_add_co_u32 v54, vcc_lo, v52, s4
	v_mul_f64 v[12:13], v[16:17], s[0:1]
	v_mul_f64 v[14:15], v[18:19], s[0:1]
	;; [unrolled: 1-line block ×6, first 2 shown]
	v_add_co_ci_u32_e32 v55, vcc_lo, s6, v53, vcc_lo
	s_waitcnt vmcnt(1)
	v_mul_f64 v[28:29], v[109:110], v[70:71]
	v_mul_f64 v[30:31], v[109:110], v[68:69]
	scratch_load_b128 v[109:112], off, off offset:136 ; 16-byte Folded Reload
	s_waitcnt vmcnt(1) lgkmcnt(1)
	v_mul_f64 v[40:41], v[119:120], v[82:83]
	v_mul_f64 v[42:43], v[119:120], v[80:81]
	scratch_load_b128 v[119:122], off, off offset:200 ; 16-byte Folded Reload
	s_clause 0x3
	global_store_b128 v[48:49], v[0:3], off
	global_store_b128 v[50:51], v[4:7], off
	global_store_b128 v[52:53], v[8:11], off
	global_store_b128 v[54:55], v[12:15], off
	v_fma_f64 v[28:29], v[107:108], v[68:69], v[28:29]
	v_fma_f64 v[30:31], v[107:108], v[70:71], -v[30:31]
	v_fma_f64 v[40:41], v[117:118], v[80:81], v[40:41]
	v_fma_f64 v[42:43], v[117:118], v[82:83], -v[42:43]
	s_delay_alu instid0(VALU_DEP_4) | instskip(NEXT) | instid1(VALU_DEP_4)
	v_mul_f64 v[24:25], v[28:29], s[0:1]
	v_mul_f64 v[26:27], v[30:31], s[0:1]
	;; [unrolled: 1-line block ×4, first 2 shown]
	s_waitcnt vmcnt(1)
	v_mul_f64 v[36:37], v[111:112], v[78:79]
	v_mul_f64 v[38:39], v[111:112], v[76:77]
	s_waitcnt vmcnt(0) lgkmcnt(0)
	v_mul_f64 v[88:89], v[121:122], v[86:87]
	v_mul_f64 v[90:91], v[121:122], v[84:85]
	s_delay_alu instid0(VALU_DEP_4) | instskip(NEXT) | instid1(VALU_DEP_4)
	v_fma_f64 v[36:37], v[109:110], v[76:77], v[36:37]
	v_fma_f64 v[38:39], v[109:110], v[78:79], -v[38:39]
	s_delay_alu instid0(VALU_DEP_4) | instskip(NEXT) | instid1(VALU_DEP_4)
	v_fma_f64 v[44:45], v[119:120], v[84:85], v[88:89]
	v_fma_f64 v[46:47], v[119:120], v[86:87], -v[90:91]
	s_delay_alu instid0(VALU_DEP_4) | instskip(NEXT) | instid1(VALU_DEP_4)
	v_mul_f64 v[32:33], v[36:37], s[0:1]
	v_mul_f64 v[34:35], v[38:39], s[0:1]
	;; [unrolled: 1-line block ×6, first 2 shown]
	v_add_co_u32 v44, vcc_lo, v54, s4
	v_add_co_ci_u32_e32 v45, vcc_lo, s6, v55, vcc_lo
	s_delay_alu instid0(VALU_DEP_2) | instskip(NEXT) | instid1(VALU_DEP_2)
	v_add_co_u32 v46, vcc_lo, v44, s4
	v_add_co_ci_u32_e32 v47, vcc_lo, s6, v45, vcc_lo
	global_store_b128 v[44:45], v[16:19], off
	v_add_co_u32 v0, vcc_lo, v46, s4
	v_add_co_ci_u32_e32 v1, vcc_lo, s6, v47, vcc_lo
	global_store_b128 v[46:47], v[20:23], off
	v_add_co_u32 v2, vcc_lo, v0, s4
	v_add_co_ci_u32_e32 v3, vcc_lo, s6, v1, vcc_lo
	s_delay_alu instid0(VALU_DEP_2) | instskip(NEXT) | instid1(VALU_DEP_2)
	v_add_co_u32 v4, vcc_lo, v2, s4
	v_add_co_ci_u32_e32 v5, vcc_lo, s6, v3, vcc_lo
	s_delay_alu instid0(VALU_DEP_2) | instskip(NEXT) | instid1(VALU_DEP_2)
	;; [unrolled: 3-line block ×3, first 2 shown]
	v_add_co_u32 v8, vcc_lo, v6, s4
	v_add_co_ci_u32_e32 v9, vcc_lo, s6, v7, vcc_lo
	global_store_b128 v[0:1], v[24:27], off
	global_store_b128 v[2:3], v[28:31], off
	global_store_b128 v[4:5], v[32:35], off
	global_store_b128 v[6:7], v[36:39], off
	global_store_b128 v[8:9], v[40:43], off
.LBB0_18:
	s_nop 0
	s_sendmsg sendmsg(MSG_DEALLOC_VGPRS)
	s_endpgm
	.section	.rodata,"a",@progbits
	.p2align	6, 0x0
	.amdhsa_kernel bluestein_single_fwd_len1694_dim1_dp_op_CI_CI
		.amdhsa_group_segment_fixed_size 27104
		.amdhsa_private_segment_fixed_size 296
		.amdhsa_kernarg_size 104
		.amdhsa_user_sgpr_count 15
		.amdhsa_user_sgpr_dispatch_ptr 0
		.amdhsa_user_sgpr_queue_ptr 0
		.amdhsa_user_sgpr_kernarg_segment_ptr 1
		.amdhsa_user_sgpr_dispatch_id 0
		.amdhsa_user_sgpr_private_segment_size 0
		.amdhsa_wavefront_size32 1
		.amdhsa_uses_dynamic_stack 0
		.amdhsa_enable_private_segment 1
		.amdhsa_system_sgpr_workgroup_id_x 1
		.amdhsa_system_sgpr_workgroup_id_y 0
		.amdhsa_system_sgpr_workgroup_id_z 0
		.amdhsa_system_sgpr_workgroup_info 0
		.amdhsa_system_vgpr_workitem_id 0
		.amdhsa_next_free_vgpr 256
		.amdhsa_next_free_sgpr 40
		.amdhsa_reserve_vcc 1
		.amdhsa_float_round_mode_32 0
		.amdhsa_float_round_mode_16_64 0
		.amdhsa_float_denorm_mode_32 3
		.amdhsa_float_denorm_mode_16_64 3
		.amdhsa_dx10_clamp 1
		.amdhsa_ieee_mode 1
		.amdhsa_fp16_overflow 0
		.amdhsa_workgroup_processor_mode 1
		.amdhsa_memory_ordered 1
		.amdhsa_forward_progress 0
		.amdhsa_shared_vgpr_count 0
		.amdhsa_exception_fp_ieee_invalid_op 0
		.amdhsa_exception_fp_denorm_src 0
		.amdhsa_exception_fp_ieee_div_zero 0
		.amdhsa_exception_fp_ieee_overflow 0
		.amdhsa_exception_fp_ieee_underflow 0
		.amdhsa_exception_fp_ieee_inexact 0
		.amdhsa_exception_int_div_zero 0
	.end_amdhsa_kernel
	.text
.Lfunc_end0:
	.size	bluestein_single_fwd_len1694_dim1_dp_op_CI_CI, .Lfunc_end0-bluestein_single_fwd_len1694_dim1_dp_op_CI_CI
                                        ; -- End function
	.section	.AMDGPU.csdata,"",@progbits
; Kernel info:
; codeLenInByte = 22468
; NumSgprs: 42
; NumVgprs: 256
; ScratchSize: 296
; MemoryBound: 0
; FloatMode: 240
; IeeeMode: 1
; LDSByteSize: 27104 bytes/workgroup (compile time only)
; SGPRBlocks: 5
; VGPRBlocks: 31
; NumSGPRsForWavesPerEU: 42
; NumVGPRsForWavesPerEU: 256
; Occupancy: 5
; WaveLimiterHint : 1
; COMPUTE_PGM_RSRC2:SCRATCH_EN: 1
; COMPUTE_PGM_RSRC2:USER_SGPR: 15
; COMPUTE_PGM_RSRC2:TRAP_HANDLER: 0
; COMPUTE_PGM_RSRC2:TGID_X_EN: 1
; COMPUTE_PGM_RSRC2:TGID_Y_EN: 0
; COMPUTE_PGM_RSRC2:TGID_Z_EN: 0
; COMPUTE_PGM_RSRC2:TIDIG_COMP_CNT: 0
	.text
	.p2alignl 7, 3214868480
	.fill 96, 4, 3214868480
	.type	__hip_cuid_91d1e0338b730cb0,@object ; @__hip_cuid_91d1e0338b730cb0
	.section	.bss,"aw",@nobits
	.globl	__hip_cuid_91d1e0338b730cb0
__hip_cuid_91d1e0338b730cb0:
	.byte	0                               ; 0x0
	.size	__hip_cuid_91d1e0338b730cb0, 1

	.ident	"AMD clang version 19.0.0git (https://github.com/RadeonOpenCompute/llvm-project roc-6.4.0 25133 c7fe45cf4b819c5991fe208aaa96edf142730f1d)"
	.section	".note.GNU-stack","",@progbits
	.addrsig
	.addrsig_sym __hip_cuid_91d1e0338b730cb0
	.amdgpu_metadata
---
amdhsa.kernels:
  - .args:
      - .actual_access:  read_only
        .address_space:  global
        .offset:         0
        .size:           8
        .value_kind:     global_buffer
      - .actual_access:  read_only
        .address_space:  global
        .offset:         8
        .size:           8
        .value_kind:     global_buffer
      - .actual_access:  read_only
        .address_space:  global
        .offset:         16
        .size:           8
        .value_kind:     global_buffer
      - .actual_access:  read_only
        .address_space:  global
        .offset:         24
        .size:           8
        .value_kind:     global_buffer
      - .actual_access:  read_only
        .address_space:  global
        .offset:         32
        .size:           8
        .value_kind:     global_buffer
      - .offset:         40
        .size:           8
        .value_kind:     by_value
      - .address_space:  global
        .offset:         48
        .size:           8
        .value_kind:     global_buffer
      - .address_space:  global
        .offset:         56
        .size:           8
        .value_kind:     global_buffer
      - .address_space:  global
        .offset:         64
        .size:           8
        .value_kind:     global_buffer
      - .address_space:  global
        .offset:         72
        .size:           8
        .value_kind:     global_buffer
      - .offset:         80
        .size:           4
        .value_kind:     by_value
      - .address_space:  global
        .offset:         88
        .size:           8
        .value_kind:     global_buffer
      - .address_space:  global
        .offset:         96
        .size:           8
        .value_kind:     global_buffer
    .group_segment_fixed_size: 27104
    .kernarg_segment_align: 8
    .kernarg_segment_size: 104
    .language:       OpenCL C
    .language_version:
      - 2
      - 0
    .max_flat_workgroup_size: 154
    .name:           bluestein_single_fwd_len1694_dim1_dp_op_CI_CI
    .private_segment_fixed_size: 296
    .sgpr_count:     42
    .sgpr_spill_count: 0
    .symbol:         bluestein_single_fwd_len1694_dim1_dp_op_CI_CI.kd
    .uniform_work_group_size: 1
    .uses_dynamic_stack: false
    .vgpr_count:     256
    .vgpr_spill_count: 81
    .wavefront_size: 32
    .workgroup_processor_mode: 1
amdhsa.target:   amdgcn-amd-amdhsa--gfx1100
amdhsa.version:
  - 1
  - 2
...

	.end_amdgpu_metadata
